;; amdgpu-corpus repo=ROCm/aiter kind=harvested arch=n/a opt=n/a

/root/src/amdgpu-assembly/repos/ROCm__aiter/hsa/gfx942/fmha_v3_bwd/bwd_hd128_bf16_a32_rtz.co:	file format elf64-amdgpu

Disassembly of section .text:

0000000000003e00 <_ZN5aiter27fmha_bwd_hd128_bf16_a32_rtzE>:
	s_and_b32 s1, s1, 0xffff                                   // 000000003E00: 8601FF01 0000FFFF
	s_load_dwordx2 s[32:33], s[0:1], 0x0                       // 000000003E08: C0060800 00000000
	s_load_dwordx2 s[36:37], s[0:1], 0x10                      // 000000003E10: C0060900 00000010
	s_load_dwordx2 s[40:41], s[0:1], 0x20                      // 000000003E18: C0060A00 00000020
	s_load_dwordx2 s[8:9], s[0:1], 0x30                        // 000000003E20: C0060200 00000030
	s_load_dwordx2 s[12:13], s[0:1], 0x40                      // 000000003E28: C0060300 00000040
	s_load_dwordx2 s[16:17], s[0:1], 0x50                      // 000000003E30: C0060400 00000050
	s_load_dwordx2 s[20:21], s[0:1], 0x60                      // 000000003E38: C0060500 00000060
	s_load_dwordx2 s[24:25], s[0:1], 0x70                      // 000000003E40: C0060600 00000070
	s_load_dwordx2 s[28:29], s[0:1], 0x80                      // 000000003E48: C0060700 00000080
	s_load_dword s48, s[0:1], 0x90                             // 000000003E50: C0020C00 00000090
	s_load_dword s49, s[0:1], 0xa0                             // 000000003E58: C0020C40 000000A0
	s_load_dword s50, s[0:1], 0xb0                             // 000000003E60: C0020C80 000000B0
	s_load_dword s51, s[0:1], 0xc0                             // 000000003E68: C0020CC0 000000C0
	s_load_dword s52, s[0:1], 0xd0                             // 000000003E70: C0020D00 000000D0
	s_load_dword s53, s[0:1], 0xe0                             // 000000003E78: C0020D40 000000E0
	s_load_dword s70, s[0:1], 0xf0                             // 000000003E80: C0021180 000000F0
	s_load_dword s44, s[0:1], 0x100                            // 000000003E88: C0020B00 00000100
	s_load_dword s5, s[0:1], 0x110                             // 000000003E90: C0020140 00000110
	s_load_dword s6, s[0:1], 0x120                             // 000000003E98: C0020180 00000120
	s_load_dword s7, s[0:1], 0x130                             // 000000003EA0: C00201C0 00000130
	s_load_dword s46, s[0:1], 0x140                            // 000000003EA8: C0020B80 00000140
	v_lshrrev_b32_e32 v1, 10, v0                               // 000000003EB0: 2002008A
	v_lshrrev_b32_e32 v2, 10, v1                               // 000000003EB4: 2004028A
	v_and_b32_e32 v2, 0x3ff, v2                                // 000000003EB8: 260404FF 000003FF
	v_and_b32_e32 v1, 0x3ff, v1                                // 000000003EC0: 260202FF 000003FF
	v_and_b32_e32 v0, 0x3ff, v0                                // 000000003EC8: 260000FF 000003FF
	v_lshrrev_b32_e32 v3, 6, v0                                // 000000003ED0: 20060086
	v_and_b32_e32 v0, 63, v0                                   // 000000003ED4: 260000BF
	s_mov_b32 s2, s2                                           // 000000003ED8: BE820002
	s_mov_b32 s3, s3                                           // 000000003EDC: BE830003
	s_mov_b32 s4, s4                                           // 000000003EE0: BE840004
	v_readfirstlane_b32 s47, v3                                // 000000003EE4: 7E5E0503
	s_waitcnt lgkmcnt(0)                                       // 000000003EE8: BF8CC07F
	s_mov_b32 s10, 0x80000000                                  // 000000003EEC: BE8A00FF 80000000
	s_mov_b32 s14, 0x80000000                                  // 000000003EF4: BE8E00FF 80000000
	s_mov_b32 s18, 0x80000000                                  // 000000003EFC: BE9200FF 80000000
	s_mov_b32 s22, 0x80000000                                  // 000000003F04: BE9600FF 80000000
	s_mov_b32 s26, 0x80000000                                  // 000000003F0C: BE9A00FF 80000000
	s_mov_b32 s30, 0x80000000                                  // 000000003F14: BE9E00FF 80000000
	s_mov_b32 s34, 0x80000000                                  // 000000003F1C: BEA200FF 80000000
	s_mov_b32 s38, 0x80000000                                  // 000000003F24: BEA600FF 80000000
	s_mov_b32 s42, 0x80000000                                  // 000000003F2C: BEAA00FF 80000000
	s_mov_b32 s11, 0x20000                                     // 000000003F34: BE8B00FF 00020000
	s_mov_b32 s15, 0x20000                                     // 000000003F3C: BE8F00FF 00020000
	s_mov_b32 s19, 0x20000                                     // 000000003F44: BE9300FF 00020000
	s_mov_b32 s23, 0x20000                                     // 000000003F4C: BE9700FF 00020000
	s_mov_b32 s27, 0x20000                                     // 000000003F54: BE9B00FF 00020000
	s_mov_b32 s31, 0x20000                                     // 000000003F5C: BE9F00FF 00020000
	s_mov_b32 s35, 0x20000                                     // 000000003F64: BEA300FF 00020000
	s_mov_b32 s39, 0x20000                                     // 000000003F6C: BEA700FF 00020000
	s_mov_b32 s43, 0x20000                                     // 000000003F74: BEAB00FF 00020000
	s_and_b32 s9, s9, 0xffff                                   // 000000003F7C: 8609FF09 0000FFFF
	s_and_b32 s13, s13, 0xffff                                 // 000000003F84: 860DFF0D 0000FFFF
	s_and_b32 s17, s17, 0xffff                                 // 000000003F8C: 8611FF11 0000FFFF
	s_and_b32 s21, s21, 0xffff                                 // 000000003F94: 8615FF15 0000FFFF
	s_and_b32 s25, s25, 0xffff                                 // 000000003F9C: 8619FF19 0000FFFF
	s_and_b32 s29, s29, 0xffff                                 // 000000003FA4: 861DFF1D 0000FFFF
	s_and_b32 s33, s33, 0xffff                                 // 000000003FAC: 8621FF21 0000FFFF
	s_and_b32 s37, s37, 0xffff                                 // 000000003FB4: 8625FF25 0000FFFF
	s_and_b32 s41, s41, 0xffff                                 // 000000003FBC: 8629FF29 0000FFFF
	s_or_b32 s9, s9, 0x40000                                   // 000000003FC4: 8709FF09 00040000
	s_or_b32 s13, s13, 0x40000                                 // 000000003FCC: 870DFF0D 00040000
	s_or_b32 s17, s17, 0x40000                                 // 000000003FD4: 8711FF11 00040000
	s_or_b32 s21, s21, 0x40000                                 // 000000003FDC: 8715FF15 00040000
	s_or_b32 s25, s25, 0x40000                                 // 000000003FE4: 8719FF19 00040000
	s_or_b32 s29, s29, 0x40000                                 // 000000003FEC: 871DFF1D 00040000
	s_or_b32 s33, s33, 0x40000                                 // 000000003FF4: 8721FF21 00040000
	s_or_b32 s37, s37, 0x40000                                 // 000000003FFC: 8725FF25 00040000
	s_or_b32 s41, s41, 0x40000                                 // 000000004004: 8729FF29 00040000
	v_accvgpr_write_b32 a255, 0                                // 00000000400C: D3D940FF 18000080
	v_mov_b32_e32 v251, 0                                      // 000000004014: 7FF60280
	s_mov_b32 s78, s8                                          // 000000004018: BECE0008
	s_mov_b32 s80, s12                                         // 00000000401C: BED0000C
	s_mov_b32 s82, s16                                         // 000000004020: BED20010
	s_mov_b32 s84, s20                                         // 000000004024: BED40014
	s_mov_b32 s79, s9                                          // 000000004028: BECF0009
	s_mov_b32 s81, s13                                         // 00000000402C: BED1000D
	s_mov_b32 s83, s17                                         // 000000004030: BED30011
	s_mov_b32 s85, s21                                         // 000000004034: BED50015
	s_mov_b32 s71, s3                                          // 000000004038: BEC70003
	v_cvt_f32_u32_e32 v28, s44                                 // 00000000403C: 7E380C2C
	s_sub_i32 s60, 0, s44                                      // 000000004040: 81BC2C80
	v_rcp_iflag_f32_e32 v28, v28                               // 000000004044: 7E38471C
	s_nop 0                                                    // 000000004048: BF800000
	v_mul_f32_e32 v28, 0x4f7ffffe, v28                         // 00000000404C: 0A3838FF 4F7FFFFE
	v_cvt_u32_f32_e32 v28, v28                                 // 000000004054: 7E380F1C
	v_mul_lo_u32 v29, s60, v28                                 // 000000004058: D285001D 0002383C
	v_mul_hi_u32 v29, v28, v29                                 // 000000004060: D286001D 00023B1C
	v_add_u32_e32 v28, v28, v29                                // 000000004068: 68383B1C
	v_mul_hi_u32 v28, s71, v28                                 // 00000000406C: D286001C 00023847
	v_mul_lo_u32 v29, v28, s44                                 // 000000004074: D285001D 0000591C
	v_sub_u32_e32 v31, s71, v29                                // 00000000407C: 6A3E3A47
	v_add_u32_e32 v30, 1, v28                                  // 000000004080: 683C3881
	v_cmp_le_u32_e32 vcc, s44, v31                             // 000000004084: 7D963E2C
	v_subrev_u32_e32 v29, s44, v31                             // 000000004088: 6C3A3E2C
	s_nop 0                                                    // 00000000408C: BF800000
	v_cndmask_b32_e32 v28, v28, v30, vcc                       // 000000004090: 00383D1C
	v_cndmask_b32_e32 v31, v31, v29, vcc                       // 000000004094: 003E3B1F
	v_add_u32_e32 v29, 1, v28                                  // 000000004098: 683A3881
	v_cmp_le_u32_e32 vcc, s44, v31                             // 00000000409C: 7D963E2C
	s_nop 1                                                    // 0000000040A0: BF800001
	v_cndmask_b32_e32 v31, v28, v29, vcc                       // 0000000040A4: 003E3B1C
	s_nop 3                                                    // 0000000040A8: BF800003
	v_readfirstlane_b32 s45, v31                               // 0000000040AC: 7E5A051F
	s_nop 3                                                    // 0000000040B0: BF800003
	v_mov_b32_e32 v28, s48                                     // 0000000040B4: 7E380230
	v_mul_f32_e32 v28, s49, v28                                // 0000000040B8: 0A383831
	s_mov_b32 s66, 0                                           // 0000000040BC: BEC20080
	s_mov_b32 s58, s50                                         // 0000000040C0: BEBA0032
	s_mov_b32 s59, 0                                           // 0000000040C4: BEBB0080
	s_mov_b32 s63, 0x5040100                                   // 0000000040C8: BEBF00FF 05040100
	s_mov_b32 s64, 0x7060302                                   // 0000000040D0: BEC000FF 07060302
	v_readfirstlane_b32 s57, v28                               // 0000000040D8: 7E72051C
	v_mov_b32_e32 v30, 0x3020706                               // 0000000040DC: 7E3C02FF 03020706
	v_mov_b32_e32 v28, s63                                     // 0000000040E4: 7E38023F
	v_and_b32_e32 v29, 1, v0                                   // 0000000040E8: 263A0081
	v_cmp_eq_u32_e32 vcc, 1, v29                               // 0000000040EC: 7D943A81
	s_mov_b32 s67, 0x2000                                      // 0000000040F0: BEC300FF 00002000
	v_cndmask_b32_e32 v15, v28, v30, vcc                       // 0000000040F8: 001E3D1C
	v_mov_b32_e32 v249, 0xffff0000                             // 0000000040FC: 7FF202FF FFFF0000
	v_mov_b32_e32 v250, 0x7fff0000                             // 000000004104: 7FF402FF 7FFF0000
	v_mov_b32_e32 v251, 0x7fff                                 // 00000000410C: 7FF602FF 00007FFF
	s_cmp_lt_u32 s47, 2                                        // 000000004114: BF0A822F
	s_cselect_b32 s24, s24, s28                                // 000000004118: 85181C18
	s_cselect_b32 s25, s25, s29                                // 00000000411C: 85191D19
	s_cselect_b32 s26, s26, s30                                // 000000004120: 851A1E1A
	s_cselect_b32 s27, s27, s31                                // 000000004124: 851B1F1B
	s_lshr_b32 s60, s47, 1                                     // 000000004128: 8F3C812F
	s_lshl_b32 s60, s60, 8                                     // 00000000412C: 8E3C883C
	s_add_u32 s76, 0xc600, s60                                 // 000000004130: 804C3CFF 0000C600
	s_add_u32 s77, 0x200, s76                                  // 000000004138: 804D4CFF 00000200
	s_mov_b32 m0, s76                                          // 000000004140: BEFC004C
	v_mov_b32_e32 v151, 0xff800000                             // 000000004144: 7F2E02FF FF800000
	s_mul_i32 s68, 16, s70                                     // 00000000414C: 92444690
	s_mov_b32 s69, 16                                          // 000000004150: BEC50090
	s_mul_i32 s60, s2, s51                                     // 000000004154: 923C3302
	s_mul_i32 s61, s45, s5                                     // 000000004158: 923D052D
	s_add_u32 s54, s60, s61                                    // 00000000415C: 80363D3C
	s_mul_i32 s61, s3, s52                                     // 000000004160: 923D3403
	s_mov_b32 s55, s61                                         // 000000004164: BEB7003D
	s_mov_b32 s56, s55                                         // 000000004168: BEB80037
	s_mul_i32 s62, s4, s53                                     // 00000000416C: 923E3504
	s_cmp_lt_u32 s53, s70                                      // 000000004170: BF0A4635
	s_cbranch_scc0 label_00E2                                  // 000000004174: BF840004
	s_lshr_b32 s62, s62, 8                                     // 000000004178: 8F3E883E
	s_mul_i32 s62, s62, s50                                    // 00000000417C: 923E323E
	s_lshl_b32 s62, s62, 2                                     // 000000004180: 8E3E823E
	s_branch label_00E3                                        // 000000004184: BF820001

0000000000004188 <label_00E2>:
	s_lshr_b32 s62, s62, 6                                     // 000000004188: 8F3E863E

000000000000418c <label_00E3>:
	s_mul_i32 s61, s3, s50                                     // 00000000418C: 923D3203
	s_mul_i32 s61, 4, s61                                      // 000000004190: 923D3D84
	s_add_u32 s65, s61, s62                                    // 000000004194: 80413E3D
	s_mov_b32 s71, s7                                          // 000000004198: BEC70007
	v_lshrrev_b32_e32 v28, 4, v0                               // 00000000419C: 20380084
	v_and_b32_e32 v29, 1, v28                                  // 0000000041A0: 263A3881
	v_lshlrev_b32_e32 v29, 1, v29                              // 0000000041A4: 243A3A81
	v_mul_i32_i24_e32 v29, s71, v29                            // 0000000041A8: 0C3A3A47
	v_and_b32_e32 v30, 2, v28                                  // 0000000041AC: 263C3882
	v_lshlrev_b32_e32 v30, 5, v30                              // 0000000041B0: 243C3C85
	v_add_u32_e32 v29, v30, v29                                // 0000000041B4: 683A3B1E
	v_and_b32_e32 v28, 15, v0                                  // 0000000041B8: 2638008F
	v_lshlrev_b32_e32 v28, 2, v28                              // 0000000041BC: 24383882
	v_add_u32_e32 v1, v28, v29                                 // 0000000041C0: 68023B1C
	s_and_b32 s60, 1, s47                                      // 0000000041C4: 863C2F81
	s_mul_i32 s60, s60, s71                                    // 0000000041C8: 923C473C
	s_mul_i32 s60, s60, 8                                      // 0000000041CC: 923C883C
	s_lshr_b32 s61, s47, 1                                     // 0000000041D0: 8F3D812F
	s_mul_i32 s61, s61, 0x80                                   // 0000000041D4: 923DFF3D 00000080
	s_add_u32 s60, s60, s61                                    // 0000000041DC: 803C3D3C
	v_add_u32_e32 v1, s60, v1                                  // 0000000041E0: 6802023C
	v_add_u32_e32 v2, s71, v1                                  // 0000000041E4: 68040247
	s_mul_i32 s60, 4, s71                                      // 0000000041E8: 923C4784
	v_add_u32_e32 v3, s60, v1                                  // 0000000041EC: 6806023C
	v_add_u32_e32 v4, s60, v2                                  // 0000000041F0: 6808043C
	v_lshrrev_b32_e32 v1, 2, v1                                // 0000000041F4: 20020282
	v_lshrrev_b32_e32 v2, 2, v2                                // 0000000041F8: 20040482
	v_lshrrev_b32_e32 v3, 2, v3                                // 0000000041FC: 20060682
	v_lshrrev_b32_e32 v4, 2, v4                                // 000000004200: 20080882
	s_add_u32 s12, s54, s80                                    // 000000004204: 800C5036
	s_addc_u32 s13, 0, s81                                     // 000000004208: 820D5180
	s_mul_i32 s60, s4, s6                                      // 00000000420C: 923C0604
	s_mul_hi_u32 s61, s4, s6                                   // 000000004210: 963D0604
	s_and_b32 s61, s61, 0xffff                                 // 000000004214: 863DFF3D 0000FFFF
	s_add_u32 s12, s12, s60                                    // 00000000421C: 800C3C0C
	s_addc_u32 s13, s13, s61                                   // 000000004220: 820D3D0D
	s_add_u32 s16, s54, s82                                    // 000000004224: 80105236
	s_addc_u32 s17, 0, s83                                     // 000000004228: 82115380
	s_mul_i32 s60, s4, s6                                      // 00000000422C: 923C0604
	s_mul_hi_u32 s61, s4, s6                                   // 000000004230: 963D0604
	s_and_b32 s61, s61, 0xffff                                 // 000000004234: 863DFF3D 0000FFFF
	s_add_u32 s16, s16, s60                                    // 00000000423C: 80103C10
	s_addc_u32 s17, s17, s61                                   // 000000004240: 82113D11
	s_add_u32 s8, s55, s78                                     // 000000004244: 80084E37
	s_addc_u32 s9, 0, s79                                      // 000000004248: 82094F80
	s_mul_i32 s60, s4, s53                                     // 00000000424C: 923C3504
	s_mul_hi_u32 s61, s4, s53                                  // 000000004250: 963D3504
	s_and_b32 s61, s61, 0xffff                                 // 000000004254: 863DFF3D 0000FFFF
	s_add_u32 s8, s8, s60                                      // 00000000425C: 80083C08
	s_addc_u32 s9, s9, s61                                     // 000000004260: 82093D09
	s_add_u32 s20, s56, s84                                    // 000000004264: 80145438
	s_addc_u32 s21, 0, s85                                     // 000000004268: 82155580
	s_mul_i32 s60, s4, s53                                     // 00000000426C: 923C3504
	s_mul_hi_u32 s61, s4, s53                                  // 000000004270: 963D3504
	s_and_b32 s61, s61, 0xffff                                 // 000000004274: 863DFF3D 0000FFFF
	s_add_u32 s20, s20, s60                                    // 00000000427C: 80143C14
	s_addc_u32 s21, s21, s61                                   // 000000004280: 82153D15
	v_and_b32_e32 v9, 15, v0                                   // 000000004284: 2612008F
	v_lshlrev_b32_e32 v9, 2, v9                                // 000000004288: 24121282
	v_add_u32_e32 v9, s65, v9                                  // 00000000428C: 68121241
	v_lshrrev_b32_e32 v9, 2, v9                                // 000000004290: 20121282
	v_lshrrev_b32_e32 v28, 4, v0                               // 000000004294: 20380084
	v_mul_i32_i24_e32 v5, s46, v28                             // 000000004298: 0C0A382E
	v_lshrrev_b32_e32 v5, 2, v5                                // 00000000429C: 200A0A82
	v_and_b32_e32 v28, 15, v0                                  // 0000000042A0: 2638008F
	v_lshlrev_b32_e32 v29, 2, v28                              // 0000000042A4: 243A3882
	v_add_u32_e32 v5, v29, v5                                  // 0000000042A8: 680A0B1D
	s_mul_i32 s60, 16, s46                                     // 0000000042AC: 923C2E90
	s_mul_i32 s60, s47, s60                                    // 0000000042B0: 923C3C2F
	v_lshlrev_b32_e32 v5, 2, v5                                // 0000000042B4: 240A0A82
	v_add_u32_e32 v5, s60, v5                                  // 0000000042B8: 680A0A3C
	s_mul_i32 s60, 0xc0, s46                                   // 0000000042BC: 923C2EFF 000000C0
	s_mul_i32 s60, s2, s60                                     // 0000000042C4: 923C3C02
	s_mul_i32 s61, s3, s5                                      // 0000000042C8: 923D0503
	s_mul_i32 s62, s4, s6                                      // 0000000042CC: 923E0604
	s_mul_i32 s62, s62, s44                                    // 0000000042D0: 923E2C3E
	s_add_u32 s60, s60, s61                                    // 0000000042D4: 803C3D3C
	s_add_u32 s60, s60, s62                                    // 0000000042D8: 803C3E3C
	v_add_u32_e32 v5, s60, v5                                  // 0000000042DC: 680A0A3C
	v_lshrrev_b32_e32 v5, 2, v5                                // 0000000042E0: 200A0A82
	v_mov_b32_e32 v6, v5                                       // 0000000042E4: 7E0C0305
	v_lshrrev_b32_e32 v28, 5, v0                               // 0000000042E8: 20380085
	v_mul_i32_i24_e32 v7, 0x100, v28                           // 0000000042EC: 0C0E38FF 00000100
	v_and_b32_e32 v28, 31, v0                                  // 0000000042F4: 2638009F
	v_add_u32_e32 v7, v28, v7                                  // 0000000042F8: 680E0F1C
	s_mul_i32 s60, s47, 0x200                                  // 0000000042FC: 923CFF2F 00000200
	v_add_u32_e32 v7, s60, v7                                  // 000000004304: 680E0E3C
	v_lshlrev_b32_e32 v7, 2, v7                                // 000000004308: 240E0E82
	v_add_u32_e32 v8, 0x200, v7                                // 00000000430C: 68100EFF 00000200
	s_mul_i32 s72, 0x80, s65                                   // 000000004314: 924841FF 00000080
	v_add_u32_e32 v7, s72, v7                                  // 00000000431C: 680E0E48
	v_lshrrev_b32_e32 v7, 2, v7                                // 000000004320: 200E0E82
	v_add_u32_e32 v8, s72, v8                                  // 000000004324: 68101048
	v_lshrrev_b32_e32 v8, 2, v8                                // 000000004328: 20101082
	s_mul_i32 s60, 3, s2                                       // 00000000432C: 923C0283
	s_lshr_b32 s61, s50, 6                                     // 000000004330: 8F3D8632
	s_sub_i32 s73, s61, s60                                    // 000000004334: 81C93C3D
	s_cmp_lt_i32 s73, 3                                        // 000000004338: BF048349
	s_cselect_b32 s73, s73, 3                                  // 00000000433C: 85498349
	v_and_b32_e32 v28, 31, v0                                  // 000000004340: 2638009F
	v_lshrrev_b32_e32 v28, 1, v28                              // 000000004344: 20383881
	v_and_b32_e32 v29, 1, v28                                  // 000000004348: 263A3881
	v_lshlrev_b32_e32 v29, 4, v29                              // 00000000434C: 243A3A84
	v_and_b32_e32 v30, 2, v28                                  // 000000004350: 263C3882
	v_lshlrev_b32_e32 v30, 2, v30                              // 000000004354: 243C3C82
	v_add_u32_e32 v29, v30, v29                                // 000000004358: 683A3B1E
	v_and_b32_e32 v30, 12, v28                                 // 00000000435C: 263C388C
	v_lshrrev_b32_e32 v30, 1, v30                              // 000000004360: 203C3C81
	v_add_u32_e32 v29, v30, v29                                // 000000004364: 683A3B1E
	v_lshrrev_b32_e32 v28, 5, v0                               // 000000004368: 20380085
	v_mul_i32_i24_e32 v30, 0x80, v28                           // 00000000436C: 0C3C38FF 00000080
	v_add_u32_e32 v29, v30, v29                                // 000000004374: 683A3B1E
	v_and_b32_e32 v30, 1, v0                                   // 000000004378: 263C0081
	v_add_u32_e32 v11, v30, v29                                // 00000000437C: 68163B1E
	s_and_b32 s60, 1, s47                                      // 000000004380: 863C2F81
	s_mul_i32 s60, s60, 64                                     // 000000004384: 923CC03C
	s_lshr_b32 s61, s47, 1                                     // 000000004388: 8F3D812F
	s_mul_i32 s61, s61, 0x220                                  // 00000000438C: 923DFF3D 00000220
	s_add_u32 s60, s60, s61                                    // 000000004394: 803C3D3C
	v_add_u32_e32 v11, s60, v11                                // 000000004398: 6816163C
	v_lshlrev_b32_e32 v11, 2, v11                              // 00000000439C: 24161682
	v_lshrrev_b32_e32 v28, 4, v0                               // 0000000043A0: 20380084
	v_and_b32_e32 v29, 1, v28                                  // 0000000043A4: 263A3881
	v_lshlrev_b32_e32 v29, 4, v29                              // 0000000043A8: 243A3A84
	v_and_b32_e32 v30, 2, v28                                  // 0000000043AC: 263C3882
	v_mul_i32_i24_e32 v30, 4, v30                              // 0000000043B0: 0C3C3C84
	v_add_u32_e32 v29, v30, v29                                // 0000000043B4: 683A3B1E
	v_and_b32_e32 v28, 15, v0                                  // 0000000043B8: 2638008F
	v_lshrrev_b32_e32 v30, 2, v28                              // 0000000043BC: 203C3882
	v_lshlrev_b32_e32 v30, 5, v30                              // 0000000043C0: 243C3C85
	v_add_u32_e32 v29, v30, v29                                // 0000000043C4: 683A3B1E
	v_and_b32_e32 v28, 3, v0                                   // 0000000043C8: 26380083
	v_and_b32_e32 v30, 1, v28                                  // 0000000043CC: 263C3881
	v_mul_i32_i24_e32 v30, 0x108, v30                          // 0000000043D0: 0C3C3CFF 00000108
	v_add_u32_e32 v29, v30, v29                                // 0000000043D8: 683A3B1E
	v_and_b32_e32 v30, 2, v28                                  // 0000000043DC: 263C3882
	v_lshlrev_b32_e32 v30, 1, v30                              // 0000000043E0: 243C3C81
	v_add_u32_e32 v10, v30, v29                                // 0000000043E4: 68143B1E
	v_lshlrev_b32_e32 v10, 2, v10                              // 0000000043E8: 24141482
	s_mul_i32 s60, s47, 0x1100                                 // 0000000043EC: 923CFF2F 00001100
	v_add_u32_e32 v22, s60, v10                                // 0000000043F4: 682C143C
	v_lshrrev_b32_e32 v28, 5, v0                               // 0000000043F8: 20380085
	v_mul_i32_i24_e32 v13, 0x80, v28                           // 0000000043FC: 0C1A38FF 00000080
	v_and_b32_e32 v28, 31, v0                                  // 000000004404: 2638009F
	v_and_b32_e32 v29, 7, v28                                  // 000000004408: 263A3887
	v_and_b32_e32 v30, 1, v29                                  // 00000000440C: 263C3A81
	v_lshlrev_b32_e32 v30, 2, v30                              // 000000004410: 243C3C82
	v_add_u32_e32 v13, v30, v13                                // 000000004414: 681A1B1E
	v_and_b32_e32 v30, 2, v29                                  // 000000004418: 263C3A82
	v_lshlrev_b32_e32 v30, 3, v30                              // 00000000441C: 243C3C83
	v_add_u32_e32 v13, v30, v13                                // 000000004420: 681A1B1E
	v_and_b32_e32 v30, 4, v29                                  // 000000004424: 263C3A84
	v_lshlrev_b32_e32 v30, 1, v30                              // 000000004428: 243C3C81
	v_add_u32_e32 v13, v30, v13                                // 00000000442C: 681A1B1E
	v_lshrrev_b32_e32 v29, 3, v28                              // 000000004430: 203A3883
	v_and_b32_e32 v30, 1, v29                                  // 000000004434: 263C3A81
	v_lshlrev_b32_e32 v30, 1, v30                              // 000000004438: 243C3C81
	v_add_u32_e32 v13, v30, v13                                // 00000000443C: 681A1B1E
	v_and_b32_e32 v30, 2, v29                                  // 000000004440: 263C3A82
	v_lshrrev_b32_e32 v30, 1, v30                              // 000000004444: 203C3C81
	v_add_u32_e32 v13, v30, v13                                // 000000004448: 681A1B1E
	s_and_b32 s60, 1, s47                                      // 00000000444C: 863C2F81
	s_mul_i32 s60, s60, 64                                     // 000000004450: 923CC03C
	s_lshr_b32 s61, s47, 1                                     // 000000004454: 8F3D812F
	s_mul_i32 s61, s61, 0x220                                  // 000000004458: 923DFF3D 00000220
	s_add_u32 s60, s60, s61                                    // 000000004460: 803C3D3C
	v_add_u32_e32 v13, s60, v13                                // 000000004464: 681A1A3C
	v_lshlrev_b32_e32 v13, 2, v13                              // 000000004468: 241A1A82
	v_and_b32_e32 v28, 15, v0                                  // 00000000446C: 2638008F
	v_and_b32_e32 v30, 1, v28                                  // 000000004470: 263C3881
	v_mul_i32_i24_e32 v12, 0x108, v30                          // 000000004474: 0C183CFF 00000108
	v_and_b32_e32 v30, 2, v28                                  // 00000000447C: 263C3882
	v_lshlrev_b32_e32 v30, 1, v30                              // 000000004480: 243C3C81
	v_add_u32_e32 v12, v30, v12                                // 000000004484: 6818191E
	v_and_b32_e32 v30, 4, v28                                  // 000000004488: 263C3884
	v_lshlrev_b32_e32 v30, 2, v30                              // 00000000448C: 243C3C82
	v_add_u32_e32 v12, v30, v12                                // 000000004490: 6818191E
	v_and_b32_e32 v30, 8, v28                                  // 000000004494: 263C3888
	v_add_u32_e32 v12, v30, v12                                // 000000004498: 6818191E
	v_lshrrev_b32_e32 v28, 4, v0                               // 00000000449C: 20380084
	v_and_b32_e32 v30, 1, v28                                  // 0000000044A0: 263C3881
	v_lshlrev_b32_e32 v30, 5, v30                              // 0000000044A4: 243C3C85
	v_add_u32_e32 v12, v30, v12                                // 0000000044A8: 6818191E
	v_and_b32_e32 v29, 2, v28                                  // 0000000044AC: 263A3882
	v_mul_i32_i24_e32 v30, 32, v29                             // 0000000044B0: 0C3C3AA0
	v_mul_i32_i24_e32 v29, 0x220, v29                          // 0000000044B4: 0C3A3AFF 00000220
	v_add_u32_e32 v23, v29, v12                                // 0000000044BC: 682E191D
	v_add_u32_e32 v12, v30, v12                                // 0000000044C0: 6818191E
	v_lshlrev_b32_e32 v12, 2, v12                              // 0000000044C4: 24181882
	v_lshlrev_b32_e32 v23, 2, v23                              // 0000000044C8: 242E2E82
	s_and_b32 s60, 1, s47                                      // 0000000044CC: 863C2F81
	s_mul_i32 s60, s60, 0x200                                  // 0000000044D0: 923CFF3C 00000200
	s_lshr_b32 s61, s47, 1                                     // 0000000044D8: 8F3D812F
	s_mul_i32 s61, s61, 0x880                                  // 0000000044DC: 923DFF3D 00000880
	s_add_u32 s60, s60, s61                                    // 0000000044E4: 803C3D3C
	v_add_u32_e32 v23, s60, v23                                // 0000000044E8: 682E2E3C
	v_lshrrev_b32_e32 v28, 4, v0                               // 0000000044EC: 20380084
	v_mul_i32_i24_e32 v21, 4, v28                              // 0000000044F0: 0C2A3884
	v_and_b32_e32 v29, 3, v0                                   // 0000000044F4: 263A0083
	v_add_u32_e32 v21, v29, v21                                // 0000000044F8: 682A2B1D
	v_lshlrev_b32_e32 v21, 2, v21                              // 0000000044FC: 242A2A82
	v_lshrrev_b32_e32 v28, 4, v0                               // 000000004500: 20380084
	v_and_b32_e32 v29, 1, v28                                  // 000000004504: 263A3881
	v_mul_i32_i24_e32 v19, 0x100, v29                          // 000000004508: 0C263AFF 00000100
	v_and_b32_e32 v29, 2, v28                                  // 000000004510: 263A3882
	v_mul_i32_i24_e32 v29, 64, v29                             // 000000004514: 0C3A3AC0
	v_add_u32_e32 v19, v29, v19                                // 000000004518: 6826271D
	v_and_b32_e32 v28, 15, v0                                  // 00000000451C: 2638008F
	v_mul_i32_i24_e32 v29, 2, v28                              // 000000004520: 0C3A3882
	v_add_u32_e32 v19, v29, v19                                // 000000004524: 6826271D
	s_mul_i32 s60, s47, 32                                     // 000000004528: 923CA02F
	v_add_u32_e32 v19, s60, v19                                // 00000000452C: 6826263C
	v_lshlrev_b32_e32 v19, 2, v19                              // 000000004530: 24262682
	v_lshlrev_b32_e32 v20, 1, v0                               // 000000004534: 24280081
	s_mul_i32 s60, s47, 0x200                                  // 000000004538: 923CFF2F 00000200
	v_add_u32_e32 v20, s60, v20                                // 000000004540: 6828283C
	v_lshlrev_b32_e32 v20, 2, v20                              // 000000004544: 24282882
	v_lshrrev_b32_e32 v28, 5, v0                               // 000000004548: 20380085
	v_mul_i32_i24_e32 v17, 64, v28                             // 00000000454C: 0C2238C0
	v_and_b32_e32 v28, 31, v0                                  // 000000004550: 2638009F
	v_and_b32_e32 v28, 3, v28                                  // 000000004554: 26383883
	v_and_b32_e32 v29, 1, v28                                  // 000000004558: 263A3881
	v_mul_i32_i24_e32 v29, 4, v29                              // 00000000455C: 0C3A3A84
	v_add_u32_e32 v17, v29, v17                                // 000000004560: 6822231D
	v_and_b32_e32 v29, 2, v28                                  // 000000004564: 263A3882
	v_mul_i32_i24_e32 v29, 0x44, v29                           // 000000004568: 0C3A3AFF 00000044
	v_add_u32_e32 v17, v29, v17                                // 000000004570: 6822231D
	v_and_b32_e32 v28, 31, v0                                  // 000000004574: 2638009F
	v_lshrrev_b32_e32 v28, 2, v28                              // 000000004578: 20383882
	v_lshrrev_b32_e32 v30, 2, v28                              // 00000000457C: 203C3882
	v_mul_i32_i24_e32 v29, 16, v30                             // 000000004580: 0C3A3C90
	v_add_u32_e32 v17, v29, v17                                // 000000004584: 6822231D
	v_and_b32_e32 v29, 2, v28                                  // 000000004588: 263A3882
	v_lshlrev_b32_e32 v29, 4, v29                              // 00000000458C: 243A3A84
	v_add_u32_e32 v17, v29, v17                                // 000000004590: 6822231D
	v_and_b32_e32 v29, 1, v28                                  // 000000004594: 263A3881
	v_xor_b32_e32 v29, v30, v29                                // 000000004598: 2A3A3B1E
	v_mul_i32_i24_e32 v29, 8, v29                              // 00000000459C: 0C3A3A88
	v_add_u32_e32 v17, v29, v17                                // 0000000045A0: 6822231D
	v_lshlrev_b32_e32 v17, 2, v17                              // 0000000045A4: 24222282
	v_lshrrev_b32_e32 v28, 5, v0                               // 0000000045A8: 20380085
	v_mul_i32_i24_e32 v18, 32, v28                             // 0000000045AC: 0C2438A0
	v_and_b32_e32 v28, 31, v0                                  // 0000000045B0: 2638009F
	v_and_b32_e32 v28, 3, v28                                  // 0000000045B4: 26383883
	v_and_b32_e32 v29, 1, v28                                  // 0000000045B8: 263A3881
	v_mul_i32_i24_e32 v29, 4, v29                              // 0000000045BC: 0C3A3A84
	v_add_u32_e32 v18, v29, v18                                // 0000000045C0: 6824251D
	v_and_b32_e32 v29, 2, v28                                  // 0000000045C4: 263A3882
	v_lshrrev_b32_e32 v29, 1, v29                              // 0000000045C8: 203A3A81
	v_add_u32_e32 v18, v29, v18                                // 0000000045CC: 6824251D
	v_and_b32_e32 v28, 31, v0                                  // 0000000045D0: 2638009F
	v_lshrrev_b32_e32 v28, 2, v28                              // 0000000045D4: 20383882
	v_and_b32_e32 v30, 1, v28                                  // 0000000045D8: 263C3881
	v_mul_i32_i24_e32 v29, 16, v30                             // 0000000045DC: 0C3A3C90
	v_add_u32_e32 v18, v29, v18                                // 0000000045E0: 6824251D
	v_and_b32_e32 v29, 2, v28                                  // 0000000045E4: 263A3882
	v_add_u32_e32 v18, v29, v18                                // 0000000045E8: 6824251D
	v_lshrrev_b32_e32 v29, 2, v28                              // 0000000045EC: 203A3882
	v_xor_b32_e32 v29, v30, v29                                // 0000000045F0: 2A3A3B1E
	v_mul_i32_i24_e32 v29, 8, v29                              // 0000000045F4: 0C3A3A88
	v_add_u32_e32 v18, v29, v18                                // 0000000045F8: 6824251D
	s_and_b32 s60, 1, s47                                      // 0000000045FC: 863C2F81
	s_mul_i32 s60, s60, 64                                     // 000000004600: 923CC03C
	s_lshr_b32 s61, s47, 1                                     // 000000004604: 8F3D812F
	s_mul_i32 s61, s61, 0x120                                  // 000000004608: 923DFF3D 00000120
	s_add_u32 s60, s60, s61                                    // 000000004610: 803C3D3C
	v_add_u32_e32 v18, s60, v18                                // 000000004614: 6824243C
	v_lshlrev_b32_e32 v18, 2, v18                              // 000000004618: 24242482
	buffer_load_dword v152, v1, s[12:15], 0 idxen              // 00000000461C: E0502000 80039801
	buffer_load_dword v153, v2, s[12:15], 0 idxen              // 000000004624: E0502000 80039902
	buffer_load_dword v154, v3, s[12:15], 0 idxen              // 00000000462C: E0502000 80039A03
	buffer_load_dword v155, v4, s[12:15], 0 idxen              // 000000004634: E0502000 80039B04
	s_mul_i32 s60, 16, s7                                      // 00000000463C: 923C0790
	s_cmp_lt_i32 0, s73                                        // 000000004640: BF044980
	s_cselect_b32 s60, s60, 0                                  // 000000004644: 853C803C
	s_add_u32 s12, s60, s12                                    // 000000004648: 800C0C3C
	s_addc_u32 s13, 0, s13                                     // 00000000464C: 820D0D80
	buffer_load_dword v156, v1, s[12:15], 0 idxen              // 000000004650: E0502000 80039C01
	buffer_load_dword v157, v2, s[12:15], 0 idxen              // 000000004658: E0502000 80039D02
	buffer_load_dword v158, v3, s[12:15], 0 idxen              // 000000004660: E0502000 80039E03
	buffer_load_dword v159, v4, s[12:15], 0 idxen              // 000000004668: E0502000 80039F04
	s_mul_i32 s60, 16, s7                                      // 000000004670: 923C0790
	s_cmp_lt_i32 0, s73                                        // 000000004674: BF044980
	s_cselect_b32 s60, s60, 0                                  // 000000004678: 853C803C
	s_add_u32 s12, s60, s12                                    // 00000000467C: 800C0C3C
	s_addc_u32 s13, 0, s13                                     // 000000004680: 820D0D80
	buffer_load_dword v160, v1, s[12:15], 0 idxen              // 000000004684: E0502000 8003A001
	buffer_load_dword v161, v2, s[12:15], 0 idxen              // 00000000468C: E0502000 8003A102
	buffer_load_dword v162, v3, s[12:15], 0 idxen              // 000000004694: E0502000 8003A203
	buffer_load_dword v163, v4, s[12:15], 0 idxen              // 00000000469C: E0502000 8003A304
	s_mul_i32 s60, 16, s7                                      // 0000000046A4: 923C0790
	s_cmp_lt_i32 0, s73                                        // 0000000046A8: BF044980
	s_cselect_b32 s60, s60, 0                                  // 0000000046AC: 853C803C
	s_add_u32 s12, s60, s12                                    // 0000000046B0: 800C0C3C
	s_addc_u32 s13, 0, s13                                     // 0000000046B4: 820D0D80
	buffer_load_dword v164, v1, s[12:15], 0 idxen              // 0000000046B8: E0502000 8003A401
	buffer_load_dword v165, v2, s[12:15], 0 idxen              // 0000000046C0: E0502000 8003A502
	buffer_load_dword v166, v3, s[12:15], 0 idxen              // 0000000046C8: E0502000 8003A603
	buffer_load_dword v167, v4, s[12:15], 0 idxen              // 0000000046D0: E0502000 8003A704
	s_mul_i32 s60, 16, s7                                      // 0000000046D8: 923C0790
	s_cmp_lt_i32 1, s73                                        // 0000000046DC: BF044981
	s_cselect_b32 s60, s60, 0                                  // 0000000046E0: 853C803C
	s_add_u32 s12, s60, s12                                    // 0000000046E4: 800C0C3C
	s_addc_u32 s13, 0, s13                                     // 0000000046E8: 820D0D80
	buffer_load_dword v168, v1, s[12:15], 0 idxen              // 0000000046EC: E0502000 8003A801
	buffer_load_dword v169, v2, s[12:15], 0 idxen              // 0000000046F4: E0502000 8003A902
	buffer_load_dword v170, v3, s[12:15], 0 idxen              // 0000000046FC: E0502000 8003AA03
	buffer_load_dword v171, v4, s[12:15], 0 idxen              // 000000004704: E0502000 8003AB04
	s_mul_i32 s60, 16, s7                                      // 00000000470C: 923C0790
	s_cmp_lt_i32 1, s73                                        // 000000004710: BF044981
	s_cselect_b32 s60, s60, 0                                  // 000000004714: 853C803C
	s_add_u32 s12, s60, s12                                    // 000000004718: 800C0C3C
	s_addc_u32 s13, 0, s13                                     // 00000000471C: 820D0D80
	buffer_load_dword v172, v1, s[12:15], 0 idxen              // 000000004720: E0502000 8003AC01
	buffer_load_dword v173, v2, s[12:15], 0 idxen              // 000000004728: E0502000 8003AD02
	buffer_load_dword v174, v3, s[12:15], 0 idxen              // 000000004730: E0502000 8003AE03
	buffer_load_dword v175, v4, s[12:15], 0 idxen              // 000000004738: E0502000 8003AF04
	s_mul_i32 s60, 16, s7                                      // 000000004740: 923C0790
	s_cmp_lt_i32 1, s73                                        // 000000004744: BF044981
	s_cselect_b32 s60, s60, 0                                  // 000000004748: 853C803C
	s_add_u32 s12, s60, s12                                    // 00000000474C: 800C0C3C
	s_addc_u32 s13, 0, s13                                     // 000000004750: 820D0D80
	buffer_load_dword v176, v1, s[12:15], 0 idxen              // 000000004754: E0502000 8003B001
	buffer_load_dword v177, v2, s[12:15], 0 idxen              // 00000000475C: E0502000 8003B102
	buffer_load_dword v178, v3, s[12:15], 0 idxen              // 000000004764: E0502000 8003B203
	buffer_load_dword v179, v4, s[12:15], 0 idxen              // 00000000476C: E0502000 8003B304
	s_mul_i32 s60, 16, s7                                      // 000000004774: 923C0790
	s_cmp_lt_i32 1, s73                                        // 000000004778: BF044981
	s_cselect_b32 s60, s60, 0                                  // 00000000477C: 853C803C
	s_add_u32 s12, s60, s12                                    // 000000004780: 800C0C3C
	s_addc_u32 s13, 0, s13                                     // 000000004784: 820D0D80
	buffer_load_dword v180, v1, s[12:15], 0 idxen              // 000000004788: E0502000 8003B401
	buffer_load_dword v181, v2, s[12:15], 0 idxen              // 000000004790: E0502000 8003B502
	buffer_load_dword v182, v3, s[12:15], 0 idxen              // 000000004798: E0502000 8003B603
	buffer_load_dword v183, v4, s[12:15], 0 idxen              // 0000000047A0: E0502000 8003B704
	s_mul_i32 s60, 16, s7                                      // 0000000047A8: 923C0790
	s_cmp_lt_i32 2, s73                                        // 0000000047AC: BF044982
	s_cselect_b32 s60, s60, 0                                  // 0000000047B0: 853C803C
	s_add_u32 s12, s60, s12                                    // 0000000047B4: 800C0C3C
	s_addc_u32 s13, 0, s13                                     // 0000000047B8: 820D0D80
	buffer_load_dword v184, v1, s[12:15], 0 idxen              // 0000000047BC: E0502000 8003B801
	buffer_load_dword v185, v2, s[12:15], 0 idxen              // 0000000047C4: E0502000 8003B902
	buffer_load_dword v186, v3, s[12:15], 0 idxen              // 0000000047CC: E0502000 8003BA03
	buffer_load_dword v187, v4, s[12:15], 0 idxen              // 0000000047D4: E0502000 8003BB04
	s_mul_i32 s60, 16, s7                                      // 0000000047DC: 923C0790
	s_cmp_lt_i32 2, s73                                        // 0000000047E0: BF044982
	s_cselect_b32 s60, s60, 0                                  // 0000000047E4: 853C803C
	s_add_u32 s12, s60, s12                                    // 0000000047E8: 800C0C3C
	s_addc_u32 s13, 0, s13                                     // 0000000047EC: 820D0D80
	buffer_load_dword v188, v1, s[12:15], 0 idxen              // 0000000047F0: E0502000 8003BC01
	buffer_load_dword v189, v2, s[12:15], 0 idxen              // 0000000047F8: E0502000 8003BD02
	buffer_load_dword v190, v3, s[12:15], 0 idxen              // 000000004800: E0502000 8003BE03
	buffer_load_dword v191, v4, s[12:15], 0 idxen              // 000000004808: E0502000 8003BF04
	s_mul_i32 s60, 16, s7                                      // 000000004810: 923C0790
	s_cmp_lt_i32 2, s73                                        // 000000004814: BF044982
	s_cselect_b32 s60, s60, 0                                  // 000000004818: 853C803C
	s_add_u32 s12, s60, s12                                    // 00000000481C: 800C0C3C
	s_addc_u32 s13, 0, s13                                     // 000000004820: 820D0D80
	buffer_load_dword v192, v1, s[12:15], 0 idxen              // 000000004824: E0502000 8003C001
	buffer_load_dword v193, v2, s[12:15], 0 idxen              // 00000000482C: E0502000 8003C102
	buffer_load_dword v194, v3, s[12:15], 0 idxen              // 000000004834: E0502000 8003C203
	buffer_load_dword v195, v4, s[12:15], 0 idxen              // 00000000483C: E0502000 8003C304
	s_mul_i32 s60, 16, s7                                      // 000000004844: 923C0790
	s_cmp_lt_i32 2, s73                                        // 000000004848: BF044982
	s_cselect_b32 s60, s60, 0                                  // 00000000484C: 853C803C
	s_add_u32 s12, s60, s12                                    // 000000004850: 800C0C3C
	s_addc_u32 s13, 0, s13                                     // 000000004854: 820D0D80
	buffer_load_dword v196, v1, s[12:15], 0 idxen              // 000000004858: E0502000 8003C401
	buffer_load_dword v197, v2, s[12:15], 0 idxen              // 000000004860: E0502000 8003C502
	buffer_load_dword v198, v3, s[12:15], 0 idxen              // 000000004868: E0502000 8003C603
	buffer_load_dword v199, v4, s[12:15], 0 idxen              // 000000004870: E0502000 8003C704
	s_mul_i32 s60, 16, s7                                      // 000000004878: 923C0790
	s_cmp_lt_i32 3, s73                                        // 00000000487C: BF044983
	s_cselect_b32 s60, s60, 0                                  // 000000004880: 853C803C
	s_add_u32 s12, s60, s12                                    // 000000004884: 800C0C3C
	s_addc_u32 s13, 0, s13                                     // 000000004888: 820D0D80
	s_waitcnt vmcnt(32) lgkmcnt(0)                             // 00000000488C: BF8C8070
	s_barrier                                                  // 000000004890: BF8A0000
	s_cmp_lt_i32 0, s73                                        // 000000004894: BF044980
	s_cbranch_scc1 label_02B7                                  // 000000004898: BF850010
	v_mov_b32_e32 v152, 0                                      // 00000000489C: 7F300280
	v_mov_b32_e32 v153, 0                                      // 0000000048A0: 7F320280
	v_mov_b32_e32 v154, 0                                      // 0000000048A4: 7F340280
	v_mov_b32_e32 v155, 0                                      // 0000000048A8: 7F360280
	v_mov_b32_e32 v156, 0                                      // 0000000048AC: 7F380280
	v_mov_b32_e32 v157, 0                                      // 0000000048B0: 7F3A0280
	v_mov_b32_e32 v158, 0                                      // 0000000048B4: 7F3C0280
	v_mov_b32_e32 v159, 0                                      // 0000000048B8: 7F3E0280
	v_mov_b32_e32 v160, 0                                      // 0000000048BC: 7F400280
	v_mov_b32_e32 v161, 0                                      // 0000000048C0: 7F420280
	v_mov_b32_e32 v162, 0                                      // 0000000048C4: 7F440280
	v_mov_b32_e32 v163, 0                                      // 0000000048C8: 7F460280
	v_mov_b32_e32 v164, 0                                      // 0000000048CC: 7F480280
	v_mov_b32_e32 v165, 0                                      // 0000000048D0: 7F4A0280
	v_mov_b32_e32 v166, 0                                      // 0000000048D4: 7F4C0280
	v_mov_b32_e32 v167, 0                                      // 0000000048D8: 7F4E0280

00000000000048dc <label_02B7>:
	v_perm_b32 v200, v153, v152, s63                           // 0000000048DC: D1ED00C8 00FF3199
	v_perm_b32 v201, v153, v152, s64                           // 0000000048E4: D1ED00C9 01033199
	v_perm_b32 v202, v155, v154, s63                           // 0000000048EC: D1ED00CA 00FF359B
	v_perm_b32 v203, v155, v154, s64                           // 0000000048F4: D1ED00CB 0103359B
	v_perm_b32 v204, v157, v156, s63                           // 0000000048FC: D1ED00CC 00FF399D
	v_perm_b32 v205, v157, v156, s64                           // 000000004904: D1ED00CD 0103399D
	v_perm_b32 v206, v159, v158, s63                           // 00000000490C: D1ED00CE 00FF3D9F
	v_perm_b32 v207, v159, v158, s64                           // 000000004914: D1ED00CF 01033D9F
	v_perm_b32 v208, v161, v160, s63                           // 00000000491C: D1ED00D0 00FF41A1
	v_perm_b32 v209, v161, v160, s64                           // 000000004924: D1ED00D1 010341A1
	v_perm_b32 v210, v163, v162, s63                           // 00000000492C: D1ED00D2 00FF45A3
	v_perm_b32 v211, v163, v162, s64                           // 000000004934: D1ED00D3 010345A3
	v_perm_b32 v212, v165, v164, s63                           // 00000000493C: D1ED00D4 00FF49A5
	v_perm_b32 v213, v165, v164, s64                           // 000000004944: D1ED00D5 010349A5
	v_perm_b32 v214, v167, v166, s63                           // 00000000494C: D1ED00D6 00FF4DA7
	v_perm_b32 v215, v167, v166, s64                           // 000000004954: D1ED00D7 01034DA7
	ds_write_b32 v13, v200 offset:17408                        // 00000000495C: D81A4400 0000C80D
	ds_write_b32 v13, v201 offset:18464                        // 000000004964: D81A4820 0000C90D
	ds_write_b32 v13, v202 offset:17536                        // 00000000496C: D81A4480 0000CA0D
	ds_write_b32 v13, v203 offset:18592                        // 000000004974: D81A48A0 0000CB0D
	ds_write_b32 v13, v204 offset:21760                        // 00000000497C: D81A5500 0000CC0D
	ds_write_b32 v13, v205 offset:22816                        // 000000004984: D81A5920 0000CD0D
	ds_write_b32 v13, v206 offset:21888                        // 00000000498C: D81A5580 0000CE0D
	ds_write_b32 v13, v207 offset:22944                        // 000000004994: D81A59A0 0000CF0D
	ds_write_b32 v13, v208 offset:26112                        // 00000000499C: D81A6600 0000D00D
	ds_write_b32 v13, v209 offset:27168                        // 0000000049A4: D81A6A20 0000D10D
	ds_write_b32 v13, v210 offset:26240                        // 0000000049AC: D81A6680 0000D20D
	ds_write_b32 v13, v211 offset:27296                        // 0000000049B4: D81A6AA0 0000D30D
	ds_write_b32 v13, v212 offset:30464                        // 0000000049BC: D81A7700 0000D40D
	ds_write_b32 v13, v213 offset:31520                        // 0000000049C4: D81A7B20 0000D50D
	ds_write_b32 v13, v214 offset:30592                        // 0000000049CC: D81A7780 0000D60D
	ds_write_b32 v13, v215 offset:31648                        // 0000000049D4: D81A7BA0 0000D70D
	ds_write_b32 v11, v152                                     // 0000000049DC: D81A0000 0000980B
	ds_write_b32 v11, v153 offset:1056                         // 0000000049E4: D81A0420 0000990B
	ds_write_b32 v11, v154 offset:128                          // 0000000049EC: D81A0080 00009A0B
	ds_write_b32 v11, v155 offset:1184                         // 0000000049F4: D81A04A0 00009B0B
	ds_write_b32 v11, v156 offset:4352                         // 0000000049FC: D81A1100 00009C0B
	ds_write_b32 v11, v157 offset:5408                         // 000000004A04: D81A1520 00009D0B
	ds_write_b32 v11, v158 offset:4480                         // 000000004A0C: D81A1180 00009E0B
	ds_write_b32 v11, v159 offset:5536                         // 000000004A14: D81A15A0 00009F0B
	ds_write_b32 v11, v160 offset:8704                         // 000000004A1C: D81A2200 0000A00B
	ds_write_b32 v11, v161 offset:9760                         // 000000004A24: D81A2620 0000A10B
	ds_write_b32 v11, v162 offset:8832                         // 000000004A2C: D81A2280 0000A20B
	ds_write_b32 v11, v163 offset:9888                         // 000000004A34: D81A26A0 0000A30B
	ds_write_b32 v11, v164 offset:13056                        // 000000004A3C: D81A3300 0000A40B
	ds_write_b32 v11, v165 offset:14112                        // 000000004A44: D81A3720 0000A50B
	ds_write_b32 v11, v166 offset:13184                        // 000000004A4C: D81A3380 0000A60B
	ds_write_b32 v11, v167 offset:14240                        // 000000004A54: D81A37A0 0000A70B
	buffer_load_dword v152, v1, s[16:19], 0 idxen              // 000000004A5C: E0502000 80049801
	buffer_load_dword v153, v2, s[16:19], 0 idxen              // 000000004A64: E0502000 80049902
	buffer_load_dword v154, v3, s[16:19], 0 idxen              // 000000004A6C: E0502000 80049A03
	buffer_load_dword v155, v4, s[16:19], 0 idxen              // 000000004A74: E0502000 80049B04
	s_mul_i32 s60, 16, s7                                      // 000000004A7C: 923C0790
	s_cmp_lt_i32 0, s73                                        // 000000004A80: BF044980
	s_cselect_b32 s60, s60, 0                                  // 000000004A84: 853C803C
	s_add_u32 s16, s60, s16                                    // 000000004A88: 8010103C
	s_addc_u32 s17, 0, s17                                     // 000000004A8C: 82111180
	buffer_load_dword v156, v1, s[16:19], 0 idxen              // 000000004A90: E0502000 80049C01
	buffer_load_dword v157, v2, s[16:19], 0 idxen              // 000000004A98: E0502000 80049D02
	buffer_load_dword v158, v3, s[16:19], 0 idxen              // 000000004AA0: E0502000 80049E03
	buffer_load_dword v159, v4, s[16:19], 0 idxen              // 000000004AA8: E0502000 80049F04
	s_mul_i32 s60, 16, s7                                      // 000000004AB0: 923C0790
	s_cmp_lt_i32 0, s73                                        // 000000004AB4: BF044980
	s_cselect_b32 s60, s60, 0                                  // 000000004AB8: 853C803C
	s_add_u32 s16, s60, s16                                    // 000000004ABC: 8010103C
	s_addc_u32 s17, 0, s17                                     // 000000004AC0: 82111180
	buffer_load_dword v160, v1, s[16:19], 0 idxen              // 000000004AC4: E0502000 8004A001
	buffer_load_dword v161, v2, s[16:19], 0 idxen              // 000000004ACC: E0502000 8004A102
	buffer_load_dword v162, v3, s[16:19], 0 idxen              // 000000004AD4: E0502000 8004A203
	buffer_load_dword v163, v4, s[16:19], 0 idxen              // 000000004ADC: E0502000 8004A304
	s_mul_i32 s60, 16, s7                                      // 000000004AE4: 923C0790
	s_cmp_lt_i32 0, s73                                        // 000000004AE8: BF044980
	s_cselect_b32 s60, s60, 0                                  // 000000004AEC: 853C803C
	s_add_u32 s16, s60, s16                                    // 000000004AF0: 8010103C
	s_addc_u32 s17, 0, s17                                     // 000000004AF4: 82111180
	buffer_load_dword v164, v1, s[16:19], 0 idxen              // 000000004AF8: E0502000 8004A401
	buffer_load_dword v165, v2, s[16:19], 0 idxen              // 000000004B00: E0502000 8004A502
	buffer_load_dword v166, v3, s[16:19], 0 idxen              // 000000004B08: E0502000 8004A603
	buffer_load_dword v167, v4, s[16:19], 0 idxen              // 000000004B10: E0502000 8004A704
	s_mul_i32 s60, 16, s7                                      // 000000004B18: 923C0790
	s_cmp_lt_i32 1, s73                                        // 000000004B1C: BF044981
	s_cselect_b32 s60, s60, 0                                  // 000000004B20: 853C803C
	s_add_u32 s16, s60, s16                                    // 000000004B24: 8010103C
	s_addc_u32 s17, 0, s17                                     // 000000004B28: 82111180
	s_waitcnt lgkmcnt(0)                                       // 000000004B2C: BF8CC07F
	s_barrier                                                  // 000000004B30: BF8A0000
	ds_read_b128 a[48:51], v23 offset:17408                    // 000000004B34: DBFE4400 30000017
	ds_read_b128 a[52:55], v23 offset:17664                    // 000000004B3C: DBFE4500 34000017
	ds_read_b128 a[56:59], v23 offset:26112                    // 000000004B44: DBFE6600 38000017
	ds_read_b128 a[60:63], v23 offset:26368                    // 000000004B4C: DBFE6700 3C000017
	ds_read_b128 a[0:3], v22                                   // 000000004B54: DBFE0000 00000016
	ds_read_b128 a[4:7], v22 offset:512                        // 000000004B5C: DBFE0200 04000016
	ds_read_b128 a[8:11], v22 offset:2176                      // 000000004B64: DBFE0880 08000016
	ds_read_b128 a[12:15], v22 offset:2688                     // 000000004B6C: DBFE0A80 0C000016
	s_waitcnt vmcnt(32) lgkmcnt(0)                             // 000000004B74: BF8C8070
	s_barrier                                                  // 000000004B78: BF8A0000
	s_cmp_lt_i32 1, s73                                        // 000000004B7C: BF044981
	s_cbranch_scc1 label_0371                                  // 000000004B80: BF850010
	v_mov_b32_e32 v168, 0                                      // 000000004B84: 7F500280
	v_mov_b32_e32 v169, 0                                      // 000000004B88: 7F520280
	v_mov_b32_e32 v170, 0                                      // 000000004B8C: 7F540280
	v_mov_b32_e32 v171, 0                                      // 000000004B90: 7F560280
	v_mov_b32_e32 v172, 0                                      // 000000004B94: 7F580280
	v_mov_b32_e32 v173, 0                                      // 000000004B98: 7F5A0280
	v_mov_b32_e32 v174, 0                                      // 000000004B9C: 7F5C0280
	v_mov_b32_e32 v175, 0                                      // 000000004BA0: 7F5E0280
	v_mov_b32_e32 v176, 0                                      // 000000004BA4: 7F600280
	v_mov_b32_e32 v177, 0                                      // 000000004BA8: 7F620280
	v_mov_b32_e32 v178, 0                                      // 000000004BAC: 7F640280
	v_mov_b32_e32 v179, 0                                      // 000000004BB0: 7F660280
	v_mov_b32_e32 v180, 0                                      // 000000004BB4: 7F680280
	v_mov_b32_e32 v181, 0                                      // 000000004BB8: 7F6A0280
	v_mov_b32_e32 v182, 0                                      // 000000004BBC: 7F6C0280
	v_mov_b32_e32 v183, 0                                      // 000000004BC0: 7F6E0280

0000000000004bc4 <label_0371>:
	v_perm_b32 v200, v169, v168, s63                           // 000000004BC4: D1ED00C8 00FF51A9
	v_perm_b32 v201, v169, v168, s64                           // 000000004BCC: D1ED00C9 010351A9
	v_perm_b32 v202, v171, v170, s63                           // 000000004BD4: D1ED00CA 00FF55AB
	v_perm_b32 v203, v171, v170, s64                           // 000000004BDC: D1ED00CB 010355AB
	v_perm_b32 v204, v173, v172, s63                           // 000000004BE4: D1ED00CC 00FF59AD
	v_perm_b32 v205, v173, v172, s64                           // 000000004BEC: D1ED00CD 010359AD
	v_perm_b32 v206, v175, v174, s63                           // 000000004BF4: D1ED00CE 00FF5DAF
	v_perm_b32 v207, v175, v174, s64                           // 000000004BFC: D1ED00CF 01035DAF
	v_perm_b32 v208, v177, v176, s63                           // 000000004C04: D1ED00D0 00FF61B1
	v_perm_b32 v209, v177, v176, s64                           // 000000004C0C: D1ED00D1 010361B1
	v_perm_b32 v210, v179, v178, s63                           // 000000004C14: D1ED00D2 00FF65B3
	v_perm_b32 v211, v179, v178, s64                           // 000000004C1C: D1ED00D3 010365B3
	v_perm_b32 v212, v181, v180, s63                           // 000000004C24: D1ED00D4 00FF69B5
	v_perm_b32 v213, v181, v180, s64                           // 000000004C2C: D1ED00D5 010369B5
	v_perm_b32 v214, v183, v182, s63                           // 000000004C34: D1ED00D6 00FF6DB7
	v_perm_b32 v215, v183, v182, s64                           // 000000004C3C: D1ED00D7 01036DB7
	ds_write_b32 v13, v200 offset:17408                        // 000000004C44: D81A4400 0000C80D
	ds_write_b32 v13, v201 offset:18464                        // 000000004C4C: D81A4820 0000C90D
	ds_write_b32 v13, v202 offset:17536                        // 000000004C54: D81A4480 0000CA0D
	ds_write_b32 v13, v203 offset:18592                        // 000000004C5C: D81A48A0 0000CB0D
	ds_write_b32 v13, v204 offset:21760                        // 000000004C64: D81A5500 0000CC0D
	ds_write_b32 v13, v205 offset:22816                        // 000000004C6C: D81A5920 0000CD0D
	ds_write_b32 v13, v206 offset:21888                        // 000000004C74: D81A5580 0000CE0D
	ds_write_b32 v13, v207 offset:22944                        // 000000004C7C: D81A59A0 0000CF0D
	ds_write_b32 v13, v208 offset:26112                        // 000000004C84: D81A6600 0000D00D
	ds_write_b32 v13, v209 offset:27168                        // 000000004C8C: D81A6A20 0000D10D
	ds_write_b32 v13, v210 offset:26240                        // 000000004C94: D81A6680 0000D20D
	ds_write_b32 v13, v211 offset:27296                        // 000000004C9C: D81A6AA0 0000D30D
	ds_write_b32 v13, v212 offset:30464                        // 000000004CA4: D81A7700 0000D40D
	ds_write_b32 v13, v213 offset:31520                        // 000000004CAC: D81A7B20 0000D50D
	ds_write_b32 v13, v214 offset:30592                        // 000000004CB4: D81A7780 0000D60D
	ds_write_b32 v13, v215 offset:31648                        // 000000004CBC: D81A7BA0 0000D70D
	ds_write_b32 v11, v168                                     // 000000004CC4: D81A0000 0000A80B
	ds_write_b32 v11, v169 offset:1056                         // 000000004CCC: D81A0420 0000A90B
	ds_write_b32 v11, v170 offset:128                          // 000000004CD4: D81A0080 0000AA0B
	ds_write_b32 v11, v171 offset:1184                         // 000000004CDC: D81A04A0 0000AB0B
	ds_write_b32 v11, v172 offset:4352                         // 000000004CE4: D81A1100 0000AC0B
	ds_write_b32 v11, v173 offset:5408                         // 000000004CEC: D81A1520 0000AD0B
	ds_write_b32 v11, v174 offset:4480                         // 000000004CF4: D81A1180 0000AE0B
	ds_write_b32 v11, v175 offset:5536                         // 000000004CFC: D81A15A0 0000AF0B
	ds_write_b32 v11, v176 offset:8704                         // 000000004D04: D81A2200 0000B00B
	ds_write_b32 v11, v177 offset:9760                         // 000000004D0C: D81A2620 0000B10B
	ds_write_b32 v11, v178 offset:8832                         // 000000004D14: D81A2280 0000B20B
	ds_write_b32 v11, v179 offset:9888                         // 000000004D1C: D81A26A0 0000B30B
	ds_write_b32 v11, v180 offset:13056                        // 000000004D24: D81A3300 0000B40B
	ds_write_b32 v11, v181 offset:14112                        // 000000004D2C: D81A3720 0000B50B
	ds_write_b32 v11, v182 offset:13184                        // 000000004D34: D81A3380 0000B60B
	ds_write_b32 v11, v183 offset:14240                        // 000000004D3C: D81A37A0 0000B70B
	buffer_load_dword v168, v1, s[16:19], 0 idxen              // 000000004D44: E0502000 8004A801
	buffer_load_dword v169, v2, s[16:19], 0 idxen              // 000000004D4C: E0502000 8004A902
	buffer_load_dword v170, v3, s[16:19], 0 idxen              // 000000004D54: E0502000 8004AA03
	buffer_load_dword v171, v4, s[16:19], 0 idxen              // 000000004D5C: E0502000 8004AB04
	s_mul_i32 s60, 16, s7                                      // 000000004D64: 923C0790
	s_cmp_lt_i32 1, s73                                        // 000000004D68: BF044981
	s_cselect_b32 s60, s60, 0                                  // 000000004D6C: 853C803C
	s_add_u32 s16, s60, s16                                    // 000000004D70: 8010103C
	s_addc_u32 s17, 0, s17                                     // 000000004D74: 82111180
	buffer_load_dword v172, v1, s[16:19], 0 idxen              // 000000004D78: E0502000 8004AC01
	buffer_load_dword v173, v2, s[16:19], 0 idxen              // 000000004D80: E0502000 8004AD02
	buffer_load_dword v174, v3, s[16:19], 0 idxen              // 000000004D88: E0502000 8004AE03
	buffer_load_dword v175, v4, s[16:19], 0 idxen              // 000000004D90: E0502000 8004AF04
	s_mul_i32 s60, 16, s7                                      // 000000004D98: 923C0790
	s_cmp_lt_i32 1, s73                                        // 000000004D9C: BF044981
	s_cselect_b32 s60, s60, 0                                  // 000000004DA0: 853C803C
	s_add_u32 s16, s60, s16                                    // 000000004DA4: 8010103C
	s_addc_u32 s17, 0, s17                                     // 000000004DA8: 82111180
	buffer_load_dword v176, v1, s[16:19], 0 idxen              // 000000004DAC: E0502000 8004B001
	buffer_load_dword v177, v2, s[16:19], 0 idxen              // 000000004DB4: E0502000 8004B102
	buffer_load_dword v178, v3, s[16:19], 0 idxen              // 000000004DBC: E0502000 8004B203
	buffer_load_dword v179, v4, s[16:19], 0 idxen              // 000000004DC4: E0502000 8004B304
	s_mul_i32 s60, 16, s7                                      // 000000004DCC: 923C0790
	s_cmp_lt_i32 1, s73                                        // 000000004DD0: BF044981
	s_cselect_b32 s60, s60, 0                                  // 000000004DD4: 853C803C
	s_add_u32 s16, s60, s16                                    // 000000004DD8: 8010103C
	s_addc_u32 s17, 0, s17                                     // 000000004DDC: 82111180
	buffer_load_dword v180, v1, s[16:19], 0 idxen              // 000000004DE0: E0502000 8004B401
	buffer_load_dword v181, v2, s[16:19], 0 idxen              // 000000004DE8: E0502000 8004B502
	buffer_load_dword v182, v3, s[16:19], 0 idxen              // 000000004DF0: E0502000 8004B603
	buffer_load_dword v183, v4, s[16:19], 0 idxen              // 000000004DF8: E0502000 8004B704
	s_mul_i32 s60, 16, s7                                      // 000000004E00: 923C0790
	s_cmp_lt_i32 2, s73                                        // 000000004E04: BF044982
	s_cselect_b32 s60, s60, 0                                  // 000000004E08: 853C803C
	s_add_u32 s16, s60, s16                                    // 000000004E0C: 8010103C
	s_addc_u32 s17, 0, s17                                     // 000000004E10: 82111180
	s_waitcnt lgkmcnt(0)                                       // 000000004E14: BF8CC07F
	s_barrier                                                  // 000000004E18: BF8A0000
	ds_read_b128 a[64:67], v23 offset:17408                    // 000000004E1C: DBFE4400 40000017
	ds_read_b128 a[68:71], v23 offset:17664                    // 000000004E24: DBFE4500 44000017
	ds_read_b128 a[72:75], v23 offset:26112                    // 000000004E2C: DBFE6600 48000017
	ds_read_b128 a[76:79], v23 offset:26368                    // 000000004E34: DBFE6700 4C000017
	ds_read_b128 a[16:19], v22                                 // 000000004E3C: DBFE0000 10000016
	ds_read_b128 a[20:23], v22 offset:512                      // 000000004E44: DBFE0200 14000016
	ds_read_b128 a[24:27], v22 offset:2176                     // 000000004E4C: DBFE0880 18000016
	ds_read_b128 a[28:31], v22 offset:2688                     // 000000004E54: DBFE0A80 1C000016
	s_waitcnt vmcnt(32) lgkmcnt(0)                             // 000000004E5C: BF8C8070
	s_barrier                                                  // 000000004E60: BF8A0000
	s_cmp_lt_i32 2, s73                                        // 000000004E64: BF044982
	s_cbranch_scc1 label_042B                                  // 000000004E68: BF850010
	v_mov_b32_e32 v184, 0                                      // 000000004E6C: 7F700280
	v_mov_b32_e32 v185, 0                                      // 000000004E70: 7F720280
	v_mov_b32_e32 v186, 0                                      // 000000004E74: 7F740280
	v_mov_b32_e32 v187, 0                                      // 000000004E78: 7F760280
	v_mov_b32_e32 v188, 0                                      // 000000004E7C: 7F780280
	v_mov_b32_e32 v189, 0                                      // 000000004E80: 7F7A0280
	v_mov_b32_e32 v190, 0                                      // 000000004E84: 7F7C0280
	v_mov_b32_e32 v191, 0                                      // 000000004E88: 7F7E0280
	v_mov_b32_e32 v192, 0                                      // 000000004E8C: 7F800280
	v_mov_b32_e32 v193, 0                                      // 000000004E90: 7F820280
	v_mov_b32_e32 v194, 0                                      // 000000004E94: 7F840280
	v_mov_b32_e32 v195, 0                                      // 000000004E98: 7F860280
	v_mov_b32_e32 v196, 0                                      // 000000004E9C: 7F880280
	v_mov_b32_e32 v197, 0                                      // 000000004EA0: 7F8A0280
	v_mov_b32_e32 v198, 0                                      // 000000004EA4: 7F8C0280
	v_mov_b32_e32 v199, 0                                      // 000000004EA8: 7F8E0280

0000000000004eac <label_042B>:
	v_perm_b32 v200, v185, v184, s63                           // 000000004EAC: D1ED00C8 00FF71B9
	v_perm_b32 v201, v185, v184, s64                           // 000000004EB4: D1ED00C9 010371B9
	v_perm_b32 v202, v187, v186, s63                           // 000000004EBC: D1ED00CA 00FF75BB
	v_perm_b32 v203, v187, v186, s64                           // 000000004EC4: D1ED00CB 010375BB
	v_perm_b32 v204, v189, v188, s63                           // 000000004ECC: D1ED00CC 00FF79BD
	v_perm_b32 v205, v189, v188, s64                           // 000000004ED4: D1ED00CD 010379BD
	v_perm_b32 v206, v191, v190, s63                           // 000000004EDC: D1ED00CE 00FF7DBF
	v_perm_b32 v207, v191, v190, s64                           // 000000004EE4: D1ED00CF 01037DBF
	v_perm_b32 v208, v193, v192, s63                           // 000000004EEC: D1ED00D0 00FF81C1
	v_perm_b32 v209, v193, v192, s64                           // 000000004EF4: D1ED00D1 010381C1
	v_perm_b32 v210, v195, v194, s63                           // 000000004EFC: D1ED00D2 00FF85C3
	v_perm_b32 v211, v195, v194, s64                           // 000000004F04: D1ED00D3 010385C3
	v_perm_b32 v212, v197, v196, s63                           // 000000004F0C: D1ED00D4 00FF89C5
	v_perm_b32 v213, v197, v196, s64                           // 000000004F14: D1ED00D5 010389C5
	v_perm_b32 v214, v199, v198, s63                           // 000000004F1C: D1ED00D6 00FF8DC7
	v_perm_b32 v215, v199, v198, s64                           // 000000004F24: D1ED00D7 01038DC7
	ds_write_b32 v13, v200 offset:17408                        // 000000004F2C: D81A4400 0000C80D
	ds_write_b32 v13, v201 offset:18464                        // 000000004F34: D81A4820 0000C90D
	ds_write_b32 v13, v202 offset:17536                        // 000000004F3C: D81A4480 0000CA0D
	ds_write_b32 v13, v203 offset:18592                        // 000000004F44: D81A48A0 0000CB0D
	ds_write_b32 v13, v204 offset:21760                        // 000000004F4C: D81A5500 0000CC0D
	ds_write_b32 v13, v205 offset:22816                        // 000000004F54: D81A5920 0000CD0D
	ds_write_b32 v13, v206 offset:21888                        // 000000004F5C: D81A5580 0000CE0D
	ds_write_b32 v13, v207 offset:22944                        // 000000004F64: D81A59A0 0000CF0D
	ds_write_b32 v13, v208 offset:26112                        // 000000004F6C: D81A6600 0000D00D
	ds_write_b32 v13, v209 offset:27168                        // 000000004F74: D81A6A20 0000D10D
	ds_write_b32 v13, v210 offset:26240                        // 000000004F7C: D81A6680 0000D20D
	ds_write_b32 v13, v211 offset:27296                        // 000000004F84: D81A6AA0 0000D30D
	ds_write_b32 v13, v212 offset:30464                        // 000000004F8C: D81A7700 0000D40D
	ds_write_b32 v13, v213 offset:31520                        // 000000004F94: D81A7B20 0000D50D
	ds_write_b32 v13, v214 offset:30592                        // 000000004F9C: D81A7780 0000D60D
	ds_write_b32 v13, v215 offset:31648                        // 000000004FA4: D81A7BA0 0000D70D
	ds_write_b32 v11, v184                                     // 000000004FAC: D81A0000 0000B80B
	ds_write_b32 v11, v185 offset:1056                         // 000000004FB4: D81A0420 0000B90B
	ds_write_b32 v11, v186 offset:128                          // 000000004FBC: D81A0080 0000BA0B
	ds_write_b32 v11, v187 offset:1184                         // 000000004FC4: D81A04A0 0000BB0B
	ds_write_b32 v11, v188 offset:4352                         // 000000004FCC: D81A1100 0000BC0B
	ds_write_b32 v11, v189 offset:5408                         // 000000004FD4: D81A1520 0000BD0B
	ds_write_b32 v11, v190 offset:4480                         // 000000004FDC: D81A1180 0000BE0B
	ds_write_b32 v11, v191 offset:5536                         // 000000004FE4: D81A15A0 0000BF0B
	ds_write_b32 v11, v192 offset:8704                         // 000000004FEC: D81A2200 0000C00B
	ds_write_b32 v11, v193 offset:9760                         // 000000004FF4: D81A2620 0000C10B
	ds_write_b32 v11, v194 offset:8832                         // 000000004FFC: D81A2280 0000C20B
	ds_write_b32 v11, v195 offset:9888                         // 000000005004: D81A26A0 0000C30B
	ds_write_b32 v11, v196 offset:13056                        // 00000000500C: D81A3300 0000C40B
	ds_write_b32 v11, v197 offset:14112                        // 000000005014: D81A3720 0000C50B
	ds_write_b32 v11, v198 offset:13184                        // 00000000501C: D81A3380 0000C60B
	ds_write_b32 v11, v199 offset:14240                        // 000000005024: D81A37A0 0000C70B
	buffer_load_dword v184, v1, s[16:19], 0 idxen              // 00000000502C: E0502000 8004B801
	buffer_load_dword v185, v2, s[16:19], 0 idxen              // 000000005034: E0502000 8004B902
	buffer_load_dword v186, v3, s[16:19], 0 idxen              // 00000000503C: E0502000 8004BA03
	buffer_load_dword v187, v4, s[16:19], 0 idxen              // 000000005044: E0502000 8004BB04
	s_mul_i32 s60, 16, s7                                      // 00000000504C: 923C0790
	s_cmp_lt_i32 2, s73                                        // 000000005050: BF044982
	s_cselect_b32 s60, s60, 0                                  // 000000005054: 853C803C
	s_add_u32 s16, s60, s16                                    // 000000005058: 8010103C
	s_addc_u32 s17, 0, s17                                     // 00000000505C: 82111180
	buffer_load_dword v188, v1, s[16:19], 0 idxen              // 000000005060: E0502000 8004BC01
	buffer_load_dword v189, v2, s[16:19], 0 idxen              // 000000005068: E0502000 8004BD02
	buffer_load_dword v190, v3, s[16:19], 0 idxen              // 000000005070: E0502000 8004BE03
	buffer_load_dword v191, v4, s[16:19], 0 idxen              // 000000005078: E0502000 8004BF04
	s_mul_i32 s60, 16, s7                                      // 000000005080: 923C0790
	s_cmp_lt_i32 2, s73                                        // 000000005084: BF044982
	s_cselect_b32 s60, s60, 0                                  // 000000005088: 853C803C
	s_add_u32 s16, s60, s16                                    // 00000000508C: 8010103C
	s_addc_u32 s17, 0, s17                                     // 000000005090: 82111180
	buffer_load_dword v192, v1, s[16:19], 0 idxen              // 000000005094: E0502000 8004C001
	buffer_load_dword v193, v2, s[16:19], 0 idxen              // 00000000509C: E0502000 8004C102
	buffer_load_dword v194, v3, s[16:19], 0 idxen              // 0000000050A4: E0502000 8004C203
	buffer_load_dword v195, v4, s[16:19], 0 idxen              // 0000000050AC: E0502000 8004C304
	s_mul_i32 s60, 16, s7                                      // 0000000050B4: 923C0790
	s_cmp_lt_i32 2, s73                                        // 0000000050B8: BF044982
	s_cselect_b32 s60, s60, 0                                  // 0000000050BC: 853C803C
	s_add_u32 s16, s60, s16                                    // 0000000050C0: 8010103C
	s_addc_u32 s17, 0, s17                                     // 0000000050C4: 82111180
	buffer_load_dword v196, v1, s[16:19], 0 idxen              // 0000000050C8: E0502000 8004C401
	buffer_load_dword v197, v2, s[16:19], 0 idxen              // 0000000050D0: E0502000 8004C502
	buffer_load_dword v198, v3, s[16:19], 0 idxen              // 0000000050D8: E0502000 8004C603
	buffer_load_dword v199, v4, s[16:19], 0 idxen              // 0000000050E0: E0502000 8004C704
	s_mul_i32 s60, 16, s7                                      // 0000000050E8: 923C0790
	s_cmp_lt_i32 3, s73                                        // 0000000050EC: BF044983
	s_cselect_b32 s60, s60, 0                                  // 0000000050F0: 853C803C
	s_add_u32 s16, s60, s16                                    // 0000000050F4: 8010103C
	s_addc_u32 s17, 0, s17                                     // 0000000050F8: 82111180
	s_waitcnt lgkmcnt(0)                                       // 0000000050FC: BF8CC07F
	s_barrier                                                  // 000000005100: BF8A0000
	ds_read_b128 a[80:83], v23 offset:17408                    // 000000005104: DBFE4400 50000017
	ds_read_b128 a[84:87], v23 offset:17664                    // 00000000510C: DBFE4500 54000017
	ds_read_b128 a[88:91], v23 offset:26112                    // 000000005114: DBFE6600 58000017
	ds_read_b128 a[92:95], v23 offset:26368                    // 00000000511C: DBFE6700 5C000017
	ds_read_b128 a[32:35], v22                                 // 000000005124: DBFE0000 20000016
	ds_read_b128 a[36:39], v22 offset:512                      // 00000000512C: DBFE0200 24000016
	ds_read_b128 a[40:43], v22 offset:2176                     // 000000005134: DBFE0880 28000016
	ds_read_b128 a[44:47], v22 offset:2688                     // 00000000513C: DBFE0A80 2C000016
	s_waitcnt vmcnt(32) lgkmcnt(0)                             // 000000005144: BF8C8070
	s_barrier                                                  // 000000005148: BF8A0000
	s_cmp_lt_i32 0, s73                                        // 00000000514C: BF044980
	s_cbranch_scc1 label_04E5                                  // 000000005150: BF850010
	v_mov_b32_e32 v152, 0                                      // 000000005154: 7F300280
	v_mov_b32_e32 v153, 0                                      // 000000005158: 7F320280
	v_mov_b32_e32 v154, 0                                      // 00000000515C: 7F340280
	v_mov_b32_e32 v155, 0                                      // 000000005160: 7F360280
	v_mov_b32_e32 v156, 0                                      // 000000005164: 7F380280
	v_mov_b32_e32 v157, 0                                      // 000000005168: 7F3A0280
	v_mov_b32_e32 v158, 0                                      // 00000000516C: 7F3C0280
	v_mov_b32_e32 v159, 0                                      // 000000005170: 7F3E0280
	v_mov_b32_e32 v160, 0                                      // 000000005174: 7F400280
	v_mov_b32_e32 v161, 0                                      // 000000005178: 7F420280
	v_mov_b32_e32 v162, 0                                      // 00000000517C: 7F440280
	v_mov_b32_e32 v163, 0                                      // 000000005180: 7F460280
	v_mov_b32_e32 v164, 0                                      // 000000005184: 7F480280
	v_mov_b32_e32 v165, 0                                      // 000000005188: 7F4A0280
	v_mov_b32_e32 v166, 0                                      // 00000000518C: 7F4C0280
	v_mov_b32_e32 v167, 0                                      // 000000005190: 7F4E0280

0000000000005194 <label_04E5>:
	ds_write_b32 v11, v152                                     // 000000005194: D81A0000 0000980B
	ds_write_b32 v11, v153 offset:1056                         // 00000000519C: D81A0420 0000990B
	ds_write_b32 v11, v154 offset:128                          // 0000000051A4: D81A0080 00009A0B
	ds_write_b32 v11, v155 offset:1184                         // 0000000051AC: D81A04A0 00009B0B
	ds_write_b32 v11, v156 offset:4352                         // 0000000051B4: D81A1100 00009C0B
	ds_write_b32 v11, v157 offset:5408                         // 0000000051BC: D81A1520 00009D0B
	ds_write_b32 v11, v158 offset:4480                         // 0000000051C4: D81A1180 00009E0B
	ds_write_b32 v11, v159 offset:5536                         // 0000000051CC: D81A15A0 00009F0B
	ds_write_b32 v11, v160 offset:8704                         // 0000000051D4: D81A2200 0000A00B
	ds_write_b32 v11, v161 offset:9760                         // 0000000051DC: D81A2620 0000A10B
	ds_write_b32 v11, v162 offset:8832                         // 0000000051E4: D81A2280 0000A20B
	ds_write_b32 v11, v163 offset:9888                         // 0000000051EC: D81A26A0 0000A30B
	ds_write_b32 v11, v164 offset:13056                        // 0000000051F4: D81A3300 0000A40B
	ds_write_b32 v11, v165 offset:14112                        // 0000000051FC: D81A3720 0000A50B
	ds_write_b32 v11, v166 offset:13184                        // 000000005204: D81A3380 0000A60B
	ds_write_b32 v11, v167 offset:14240                        // 00000000520C: D81A37A0 0000A70B
	s_mov_b32 s71, s70                                         // 000000005214: BEC70046
	v_lshrrev_b32_e32 v28, 4, v0                               // 000000005218: 20380084
	v_and_b32_e32 v29, 1, v28                                  // 00000000521C: 263A3881
	v_lshlrev_b32_e32 v29, 1, v29                              // 000000005220: 243A3A81
	v_mul_i32_i24_e32 v29, s71, v29                            // 000000005224: 0C3A3A47
	v_and_b32_e32 v30, 2, v28                                  // 000000005228: 263C3882
	v_lshlrev_b32_e32 v30, 5, v30                              // 00000000522C: 243C3C85
	v_add_u32_e32 v29, v30, v29                                // 000000005230: 683A3B1E
	v_and_b32_e32 v28, 15, v0                                  // 000000005234: 2638008F
	v_lshlrev_b32_e32 v28, 2, v28                              // 000000005238: 24383882
	v_add_u32_e32 v1, v28, v29                                 // 00000000523C: 68023B1C
	s_and_b32 s60, 1, s47                                      // 000000005240: 863C2F81
	s_mul_i32 s60, s60, s71                                    // 000000005244: 923C473C
	s_mul_i32 s60, s60, 8                                      // 000000005248: 923C883C
	s_lshr_b32 s61, s47, 1                                     // 00000000524C: 8F3D812F
	s_mul_i32 s61, s61, 0x80                                   // 000000005250: 923DFF3D 00000080
	s_add_u32 s60, s60, s61                                    // 000000005258: 803C3D3C
	v_add_u32_e32 v1, s60, v1                                  // 00000000525C: 6802023C
	v_add_u32_e32 v2, s71, v1                                  // 000000005260: 68040247
	s_mul_i32 s60, 4, s71                                      // 000000005264: 923C4784
	v_add_u32_e32 v3, s60, v1                                  // 000000005268: 6806023C
	v_add_u32_e32 v4, s60, v2                                  // 00000000526C: 6808043C
	v_lshrrev_b32_e32 v1, 2, v1                                // 000000005270: 20020282
	v_lshrrev_b32_e32 v2, 2, v2                                // 000000005274: 20040482
	;; [unrolled: 1-line block ×3, first 2 shown]
	v_lshrrev_b32_e32 v4, 2, v4                                // 00000000527C: 20080882
	buffer_load_dword v32, v1, s[8:11], 0 idxen                // 000000005280: E0502000 80022001
	buffer_load_dword v33, v2, s[8:11], 0 idxen                // 000000005288: E0502000 80022102
	;; [unrolled: 1-line block ×4, first 2 shown]
	buffer_load_dword v40, v1, s[20:23], 0 idxen               // 0000000052A0: E0502000 80052801
	buffer_load_dword v41, v2, s[20:23], 0 idxen               // 0000000052A8: E0502000 80052902
	buffer_load_dword v42, v3, s[20:23], 0 idxen               // 0000000052B0: E0502000 80052A03
	buffer_load_dword v43, v4, s[20:23], 0 idxen               // 0000000052B8: E0502000 80052B04
	s_waitcnt lgkmcnt(0)                                       // 0000000052C0: BF8CC07F
	s_barrier                                                  // 0000000052C4: BF8A0000
	ds_read_b128 a[96:99], v22                                 // 0000000052C8: DBFE0000 60000016
	ds_read_b128 a[100:103], v22 offset:512                    // 0000000052D0: DBFE0200 64000016
	ds_read_b128 a[104:107], v22 offset:2176                   // 0000000052D8: DBFE0880 68000016
	ds_read_b128 a[108:111], v22 offset:2688                   // 0000000052E0: DBFE0A80 6C000016
	s_add_u32 s8, s68, s8                                      // 0000000052E8: 80080844
	s_addc_u32 s9, 0, s9                                       // 0000000052EC: 82090980
	s_add_u32 s20, s68, s20                                    // 0000000052F0: 80141444
	s_addc_u32 s21, 0, s21                                     // 0000000052F4: 82151580
	s_waitcnt vmcnt(24) lgkmcnt(0)                             // 0000000052F8: BF8C4078
	s_barrier                                                  // 0000000052FC: BF8A0000
	s_cmp_lt_i32 1, s73                                        // 000000005300: BF044981
	s_cbranch_scc1 label_0552                                  // 000000005304: BF850010
	v_mov_b32_e32 v168, 0                                      // 000000005308: 7F500280
	v_mov_b32_e32 v169, 0                                      // 00000000530C: 7F520280
	v_mov_b32_e32 v170, 0                                      // 000000005310: 7F540280
	v_mov_b32_e32 v171, 0                                      // 000000005314: 7F560280
	v_mov_b32_e32 v172, 0                                      // 000000005318: 7F580280
	v_mov_b32_e32 v173, 0                                      // 00000000531C: 7F5A0280
	v_mov_b32_e32 v174, 0                                      // 000000005320: 7F5C0280
	v_mov_b32_e32 v175, 0                                      // 000000005324: 7F5E0280
	v_mov_b32_e32 v176, 0                                      // 000000005328: 7F600280
	v_mov_b32_e32 v177, 0                                      // 00000000532C: 7F620280
	v_mov_b32_e32 v178, 0                                      // 000000005330: 7F640280
	v_mov_b32_e32 v179, 0                                      // 000000005334: 7F660280
	v_mov_b32_e32 v180, 0                                      // 000000005338: 7F680280
	v_mov_b32_e32 v181, 0                                      // 00000000533C: 7F6A0280
	v_mov_b32_e32 v182, 0                                      // 000000005340: 7F6C0280
	v_mov_b32_e32 v183, 0                                      // 000000005344: 7F6E0280

0000000000005348 <label_0552>:
	ds_write_b32 v11, v168                                     // 000000005348: D81A0000 0000A80B
	ds_write_b32 v11, v169 offset:1056                         // 000000005350: D81A0420 0000A90B
	ds_write_b32 v11, v170 offset:128                          // 000000005358: D81A0080 0000AA0B
	ds_write_b32 v11, v171 offset:1184                         // 000000005360: D81A04A0 0000AB0B
	ds_write_b32 v11, v172 offset:4352                         // 000000005368: D81A1100 0000AC0B
	ds_write_b32 v11, v173 offset:5408                         // 000000005370: D81A1520 0000AD0B
	ds_write_b32 v11, v174 offset:4480                         // 000000005378: D81A1180 0000AE0B
	ds_write_b32 v11, v175 offset:5536                         // 000000005380: D81A15A0 0000AF0B
	ds_write_b32 v11, v176 offset:8704                         // 000000005388: D81A2200 0000B00B
	ds_write_b32 v11, v177 offset:9760                         // 000000005390: D81A2620 0000B10B
	ds_write_b32 v11, v178 offset:8832                         // 000000005398: D81A2280 0000B20B
	ds_write_b32 v11, v179 offset:9888                         // 0000000053A0: D81A26A0 0000B30B
	ds_write_b32 v11, v180 offset:13056                        // 0000000053A8: D81A3300 0000B40B
	ds_write_b32 v11, v181 offset:14112                        // 0000000053B0: D81A3720 0000B50B
	ds_write_b32 v11, v182 offset:13184                        // 0000000053B8: D81A3380 0000B60B
	ds_write_b32 v11, v183 offset:14240                        // 0000000053C0: D81A37A0 0000B70B
	buffer_load_dword v36, v1, s[8:11], 0 idxen                // 0000000053C8: E0502000 80022401
	buffer_load_dword v37, v2, s[8:11], 0 idxen                // 0000000053D0: E0502000 80022502
	buffer_load_dword v38, v3, s[8:11], 0 idxen                // 0000000053D8: E0502000 80022603
	buffer_load_dword v39, v4, s[8:11], 0 idxen                // 0000000053E0: E0502000 80022704
	buffer_load_dword v44, v1, s[20:23], 0 idxen               // 0000000053E8: E0502000 80052C01
	buffer_load_dword v45, v2, s[20:23], 0 idxen               // 0000000053F0: E0502000 80052D02
	buffer_load_dword v46, v3, s[20:23], 0 idxen               // 0000000053F8: E0502000 80052E03
	buffer_load_dword v47, v4, s[20:23], 0 idxen               // 000000005400: E0502000 80052F04
	s_waitcnt lgkmcnt(0)                                       // 000000005408: BF8CC07F
	s_barrier                                                  // 00000000540C: BF8A0000
	ds_read_b128 a[112:115], v22                               // 000000005410: DBFE0000 70000016
	ds_read_b128 a[116:119], v22 offset:512                    // 000000005418: DBFE0200 74000016
	ds_read_b128 a[120:123], v22 offset:2176                   // 000000005420: DBFE0880 78000016
	ds_read_b128 a[124:127], v22 offset:2688                   // 000000005428: DBFE0A80 7C000016
	s_add_u32 s8, s68, s8                                      // 000000005430: 80080844
	s_addc_u32 s9, 0, s9                                       // 000000005434: 82090980
	s_add_u32 s20, s68, s20                                    // 000000005438: 80141444
	s_addc_u32 s21, 0, s21                                     // 00000000543C: 82151580
	s_waitcnt vmcnt(16) lgkmcnt(0)                             // 000000005440: BF8C4070
	s_barrier                                                  // 000000005444: BF8A0000
	s_cmp_lt_i32 2, s73                                        // 000000005448: BF044982
	s_cbranch_scc1 label_05A4                                  // 00000000544C: BF850010
	v_mov_b32_e32 v184, 0                                      // 000000005450: 7F700280
	v_mov_b32_e32 v185, 0                                      // 000000005454: 7F720280
	v_mov_b32_e32 v186, 0                                      // 000000005458: 7F740280
	v_mov_b32_e32 v187, 0                                      // 00000000545C: 7F760280
	v_mov_b32_e32 v188, 0                                      // 000000005460: 7F780280
	v_mov_b32_e32 v189, 0                                      // 000000005464: 7F7A0280
	v_mov_b32_e32 v190, 0                                      // 000000005468: 7F7C0280
	v_mov_b32_e32 v191, 0                                      // 00000000546C: 7F7E0280
	v_mov_b32_e32 v192, 0                                      // 000000005470: 7F800280
	v_mov_b32_e32 v193, 0                                      // 000000005474: 7F820280
	v_mov_b32_e32 v194, 0                                      // 000000005478: 7F840280
	v_mov_b32_e32 v195, 0                                      // 00000000547C: 7F860280
	v_mov_b32_e32 v196, 0                                      // 000000005480: 7F880280
	v_mov_b32_e32 v197, 0                                      // 000000005484: 7F8A0280
	v_mov_b32_e32 v198, 0                                      // 000000005488: 7F8C0280
	v_mov_b32_e32 v199, 0                                      // 00000000548C: 7F8E0280

0000000000005490 <label_05A4>:
	ds_write_b32 v11, v184                                     // 000000005490: D81A0000 0000B80B
	ds_write_b32 v11, v185 offset:1056                         // 000000005498: D81A0420 0000B90B
	ds_write_b32 v11, v186 offset:128                          // 0000000054A0: D81A0080 0000BA0B
	ds_write_b32 v11, v187 offset:1184                         // 0000000054A8: D81A04A0 0000BB0B
	ds_write_b32 v11, v188 offset:4352                         // 0000000054B0: D81A1100 0000BC0B
	ds_write_b32 v11, v189 offset:5408                         // 0000000054B8: D81A1520 0000BD0B
	ds_write_b32 v11, v190 offset:4480                         // 0000000054C0: D81A1180 0000BE0B
	ds_write_b32 v11, v191 offset:5536                         // 0000000054C8: D81A15A0 0000BF0B
	ds_write_b32 v11, v192 offset:8704                         // 0000000054D0: D81A2200 0000C00B
	ds_write_b32 v11, v193 offset:9760                         // 0000000054D8: D81A2620 0000C10B
	ds_write_b32 v11, v194 offset:8832                         // 0000000054E0: D81A2280 0000C20B
	ds_write_b32 v11, v195 offset:9888                         // 0000000054E8: D81A26A0 0000C30B
	ds_write_b32 v11, v196 offset:13056                        // 0000000054F0: D81A3300 0000C40B
	ds_write_b32 v11, v197 offset:14112                        // 0000000054F8: D81A3720 0000C50B
	ds_write_b32 v11, v198 offset:13184                        // 000000005500: D81A3380 0000C60B
	ds_write_b32 v11, v199 offset:14240                        // 000000005508: D81A37A0 0000C70B
	s_waitcnt lgkmcnt(0)                                       // 000000005510: BF8CC07F
	s_barrier                                                  // 000000005514: BF8A0000
	ds_read_b128 a[128:131], v22                               // 000000005518: DBFE0000 80000016
	ds_read_b128 a[132:135], v22 offset:512                    // 000000005520: DBFE0200 84000016
	ds_read_b128 a[136:139], v22 offset:2176                   // 000000005528: DBFE0880 88000016
	ds_read_b128 a[140:143], v22 offset:2688                   // 000000005530: DBFE0A80 8C000016
	s_waitcnt vmcnt(8) lgkmcnt(0)                              // 000000005538: BF8C0078
	s_barrier                                                  // 00000000553C: BF8A0000
	buffer_load_dword v9, s[24:27], 0 idxen lds                // 000000005540: E0512000 80060009
	s_mov_b32 m0, s77                                          // 000000005548: BEFC004D
	v_add_u32_e32 v9, s69, v9                                  // 00000000554C: 68121245
	v_perm_b32 v84, v33, v32, s63                              // 000000005550: D1ED0054 00FE4121
	v_perm_b32 v85, v33, v32, s64                              // 000000005558: D1ED0055 01024121
	v_perm_b32 v86, v35, v34, s63                              // 000000005560: D1ED0056 00FE4523
	v_perm_b32 v87, v35, v34, s64                              // 000000005568: D1ED0057 01024523
	ds_write_b32 v13, v84 offset:4352                          // 000000005570: D81A1100 0000540D
	ds_write_b32 v13, v85 offset:5408                          // 000000005578: D81A1520 0000550D
	ds_write_b32 v13, v86 offset:4480                          // 000000005580: D81A1180 0000560D
	ds_write_b32 v13, v87 offset:5536                          // 000000005588: D81A15A0 0000570D
	ds_write_b32 v11, v32                                      // 000000005590: D81A0000 0000200B
	ds_write_b32 v11, v33 offset:1056                          // 000000005598: D81A0420 0000210B
	ds_write_b32 v11, v34 offset:128                           // 0000000055A0: D81A0080 0000220B
	ds_write_b32 v11, v35 offset:1184                          // 0000000055A8: D81A04A0 0000230B
	buffer_load_dword v9, s[24:27], 0 idxen lds                // 0000000055B0: E0512000 80060009
	s_mov_b32 m0, s76                                          // 0000000055B8: BEFC004C
	v_add_u32_e32 v9, s69, v9                                  // 0000000055BC: 68121245
	v_perm_b32 v88, v41, v40, s63                              // 0000000055C0: D1ED0058 00FE5129
	v_perm_b32 v89, v41, v40, s64                              // 0000000055C8: D1ED0059 01025129
	v_perm_b32 v90, v43, v42, s63                              // 0000000055D0: D1ED005A 00FE552B
	v_perm_b32 v91, v43, v42, s64                              // 0000000055D8: D1ED005B 0102552B
	ds_write_b32 v13, v88 offset:13056                         // 0000000055E0: D81A3300 0000580D
	ds_write_b32 v13, v89 offset:14112                         // 0000000055E8: D81A3720 0000590D
	ds_write_b32 v13, v90 offset:13184                         // 0000000055F0: D81A3380 00005A0D
	ds_write_b32 v13, v91 offset:14240                         // 0000000055F8: D81A37A0 00005B0D
	ds_write_b32 v11, v40 offset:8704                          // 000000005600: D81A2200 0000280B
	ds_write_b32 v11, v41 offset:9760                          // 000000005608: D81A2620 0000290B
	ds_write_b32 v11, v42 offset:8832                          // 000000005610: D81A2280 00002A0B
	ds_write_b32 v11, v43 offset:9888                          // 000000005618: D81A26A0 00002B0B
	s_waitcnt vmcnt(1) lgkmcnt(0)                              // 000000005620: BF8C0071
	s_barrier                                                  // 000000005624: BF8A0000
	ds_read_b128 a[144:147], v10                               // 000000005628: DBFE0000 9000000A
	ds_read_b128 a[148:151], v10 offset:512                    // 000000005630: DBFE0200 9400000A
	ds_read_b128 a[152:155], v10 offset:2176                   // 000000005638: DBFE0880 9800000A
	ds_read_b128 a[156:159], v10 offset:2688                   // 000000005640: DBFE0A80 9C00000A
	ds_read_b128 v[92:95], v10 offset:8704                     // 000000005648: D9FE2200 5C00000A
	ds_read_b128 v[96:99], v10 offset:9216                     // 000000005650: D9FE2400 6000000A
	ds_read_b128 v[100:103], v10 offset:10880                  // 000000005658: D9FE2A80 6400000A
	ds_read_b128 v[104:107], v10 offset:11392                  // 000000005660: D9FE2C80 6800000A
	ds_read_b32 v124, v21 offset:50688                         // 000000005668: D86CC600 7C000015
	ds_read_b32 v150, v21 offset:50944                         // 000000005670: D86CC700 96000015
	v_accvgpr_write_b32 a160, 0                                // 000000005678: D3D940A0 18000080
	v_mov_b32_e32 v152, 0                                      // 000000005680: 7F300280
	v_accvgpr_write_b32 a161, 0                                // 000000005684: D3D940A1 18000080
	v_mov_b32_e32 v153, 0                                      // 00000000568C: 7F320280
	v_accvgpr_write_b32 a162, 0                                // 000000005690: D3D940A2 18000080
	v_mov_b32_e32 v154, 0                                      // 000000005698: 7F340280
	v_accvgpr_write_b32 a163, 0                                // 00000000569C: D3D940A3 18000080
	v_mov_b32_e32 v155, 0                                      // 0000000056A4: 7F360280
	v_accvgpr_write_b32 a164, 0                                // 0000000056A8: D3D940A4 18000080
	v_mov_b32_e32 v156, 0                                      // 0000000056B0: 7F380280
	v_accvgpr_write_b32 a165, 0                                // 0000000056B4: D3D940A5 18000080
	v_mov_b32_e32 v157, 0                                      // 0000000056BC: 7F3A0280
	v_accvgpr_write_b32 a166, 0                                // 0000000056C0: D3D940A6 18000080
	v_mov_b32_e32 v158, 0                                      // 0000000056C8: 7F3C0280
	v_accvgpr_write_b32 a167, 0                                // 0000000056CC: D3D940A7 18000080
	v_mov_b32_e32 v159, 0                                      // 0000000056D4: 7F3E0280
	v_accvgpr_write_b32 a168, 0                                // 0000000056D8: D3D940A8 18000080
	v_mov_b32_e32 v160, 0                                      // 0000000056E0: 7F400280
	v_accvgpr_write_b32 a169, 0                                // 0000000056E4: D3D940A9 18000080
	v_mov_b32_e32 v161, 0                                      // 0000000056EC: 7F420280
	v_accvgpr_write_b32 a170, 0                                // 0000000056F0: D3D940AA 18000080
	v_mov_b32_e32 v162, 0                                      // 0000000056F8: 7F440280
	v_accvgpr_write_b32 a171, 0                                // 0000000056FC: D3D940AB 18000080
	v_mov_b32_e32 v163, 0                                      // 000000005704: 7F460280
	v_accvgpr_write_b32 a172, 0                                // 000000005708: D3D940AC 18000080
	v_mov_b32_e32 v164, 0                                      // 000000005710: 7F480280
	v_accvgpr_write_b32 a173, 0                                // 000000005714: D3D940AD 18000080
	v_mov_b32_e32 v165, 0                                      // 00000000571C: 7F4A0280
	v_accvgpr_write_b32 a174, 0                                // 000000005720: D3D940AE 18000080
	v_mov_b32_e32 v166, 0                                      // 000000005728: 7F4C0280
	v_accvgpr_write_b32 a175, 0                                // 00000000572C: D3D940AF 18000080
	v_mov_b32_e32 v167, 0                                      // 000000005734: 7F4E0280
	v_accvgpr_write_b32 a176, 0                                // 000000005738: D3D940B0 18000080
	v_mov_b32_e32 v168, 0                                      // 000000005740: 7F500280
	v_accvgpr_write_b32 a177, 0                                // 000000005744: D3D940B1 18000080
	v_mov_b32_e32 v169, 0                                      // 00000000574C: 7F520280
	v_accvgpr_write_b32 a178, 0                                // 000000005750: D3D940B2 18000080
	v_mov_b32_e32 v170, 0                                      // 000000005758: 7F540280
	v_accvgpr_write_b32 a179, 0                                // 00000000575C: D3D940B3 18000080
	v_mov_b32_e32 v171, 0                                      // 000000005764: 7F560280
	v_accvgpr_write_b32 a180, 0                                // 000000005768: D3D940B4 18000080
	v_mov_b32_e32 v172, 0                                      // 000000005770: 7F580280
	v_accvgpr_write_b32 a181, 0                                // 000000005774: D3D940B5 18000080
	v_mov_b32_e32 v173, 0                                      // 00000000577C: 7F5A0280
	v_accvgpr_write_b32 a182, 0                                // 000000005780: D3D940B6 18000080
	v_mov_b32_e32 v174, 0                                      // 000000005788: 7F5C0280
	v_accvgpr_write_b32 a183, 0                                // 00000000578C: D3D940B7 18000080
	v_mov_b32_e32 v175, 0                                      // 000000005794: 7F5E0280
	v_accvgpr_write_b32 a184, 0                                // 000000005798: D3D940B8 18000080
	v_mov_b32_e32 v176, 0                                      // 0000000057A0: 7F600280
	v_accvgpr_write_b32 a185, 0                                // 0000000057A4: D3D940B9 18000080
	v_mov_b32_e32 v177, 0                                      // 0000000057AC: 7F620280
	v_accvgpr_write_b32 a186, 0                                // 0000000057B0: D3D940BA 18000080
	v_mov_b32_e32 v178, 0                                      // 0000000057B8: 7F640280
	v_accvgpr_write_b32 a187, 0                                // 0000000057BC: D3D940BB 18000080
	v_mov_b32_e32 v179, 0                                      // 0000000057C4: 7F660280
	v_accvgpr_write_b32 a188, 0                                // 0000000057C8: D3D940BC 18000080
	v_mov_b32_e32 v180, 0                                      // 0000000057D0: 7F680280
	v_accvgpr_write_b32 a189, 0                                // 0000000057D4: D3D940BD 18000080
	v_mov_b32_e32 v181, 0                                      // 0000000057DC: 7F6A0280
	v_accvgpr_write_b32 a190, 0                                // 0000000057E0: D3D940BE 18000080
	v_mov_b32_e32 v182, 0                                      // 0000000057E8: 7F6C0280
	v_accvgpr_write_b32 a191, 0                                // 0000000057EC: D3D940BF 18000080
	v_mov_b32_e32 v183, 0                                      // 0000000057F4: 7F6E0280
	v_accvgpr_write_b32 a192, 0                                // 0000000057F8: D3D940C0 18000080
	v_mov_b32_e32 v184, 0                                      // 000000005800: 7F700280
	v_accvgpr_write_b32 a193, 0                                // 000000005804: D3D940C1 18000080
	v_mov_b32_e32 v185, 0                                      // 00000000580C: 7F720280
	v_accvgpr_write_b32 a194, 0                                // 000000005810: D3D940C2 18000080
	v_mov_b32_e32 v186, 0                                      // 000000005818: 7F740280
	v_accvgpr_write_b32 a195, 0                                // 00000000581C: D3D940C3 18000080
	v_mov_b32_e32 v187, 0                                      // 000000005824: 7F760280
	v_accvgpr_write_b32 a196, 0                                // 000000005828: D3D940C4 18000080
	v_mov_b32_e32 v188, 0                                      // 000000005830: 7F780280
	v_accvgpr_write_b32 a197, 0                                // 000000005834: D3D940C5 18000080
	v_mov_b32_e32 v189, 0                                      // 00000000583C: 7F7A0280
	v_accvgpr_write_b32 a198, 0                                // 000000005840: D3D940C6 18000080
	v_mov_b32_e32 v190, 0                                      // 000000005848: 7F7C0280
	v_accvgpr_write_b32 a199, 0                                // 00000000584C: D3D940C7 18000080
	v_mov_b32_e32 v191, 0                                      // 000000005854: 7F7E0280
	v_accvgpr_write_b32 a200, 0                                // 000000005858: D3D940C8 18000080
	v_mov_b32_e32 v192, 0                                      // 000000005860: 7F800280
	v_accvgpr_write_b32 a201, 0                                // 000000005864: D3D940C9 18000080
	v_mov_b32_e32 v193, 0                                      // 00000000586C: 7F820280
	v_accvgpr_write_b32 a202, 0                                // 000000005870: D3D940CA 18000080
	v_mov_b32_e32 v194, 0                                      // 000000005878: 7F840280
	v_accvgpr_write_b32 a203, 0                                // 00000000587C: D3D940CB 18000080
	v_mov_b32_e32 v195, 0                                      // 000000005884: 7F860280
	v_accvgpr_write_b32 a204, 0                                // 000000005888: D3D940CC 18000080
	v_mov_b32_e32 v196, 0                                      // 000000005890: 7F880280
	v_accvgpr_write_b32 a205, 0                                // 000000005894: D3D940CD 18000080
	v_mov_b32_e32 v197, 0                                      // 00000000589C: 7F8A0280
	v_accvgpr_write_b32 a206, 0                                // 0000000058A0: D3D940CE 18000080
	v_mov_b32_e32 v198, 0                                      // 0000000058A8: 7F8C0280
	v_accvgpr_write_b32 a207, 0                                // 0000000058AC: D3D940CF 18000080
	v_mov_b32_e32 v199, 0                                      // 0000000058B4: 7F8E0280
	v_accvgpr_write_b32 a208, 0                                // 0000000058B8: D3D940D0 18000080
	v_mov_b32_e32 v200, 0                                      // 0000000058C0: 7F900280
	v_accvgpr_write_b32 a209, 0                                // 0000000058C4: D3D940D1 18000080
	v_mov_b32_e32 v201, 0                                      // 0000000058CC: 7F920280
	v_accvgpr_write_b32 a210, 0                                // 0000000058D0: D3D940D2 18000080
	v_mov_b32_e32 v202, 0                                      // 0000000058D8: 7F940280
	v_accvgpr_write_b32 a211, 0                                // 0000000058DC: D3D940D3 18000080
	v_mov_b32_e32 v203, 0                                      // 0000000058E4: 7F960280
	v_accvgpr_write_b32 a212, 0                                // 0000000058E8: D3D940D4 18000080
	v_mov_b32_e32 v204, 0                                      // 0000000058F0: 7F980280
	v_accvgpr_write_b32 a213, 0                                // 0000000058F4: D3D940D5 18000080
	v_mov_b32_e32 v205, 0                                      // 0000000058FC: 7F9A0280
	v_accvgpr_write_b32 a214, 0                                // 000000005900: D3D940D6 18000080
	v_mov_b32_e32 v206, 0                                      // 000000005908: 7F9C0280
	v_accvgpr_write_b32 a215, 0                                // 00000000590C: D3D940D7 18000080
	v_mov_b32_e32 v207, 0                                      // 000000005914: 7F9E0280
	v_accvgpr_write_b32 a216, 0                                // 000000005918: D3D940D8 18000080
	v_mov_b32_e32 v208, 0                                      // 000000005920: 7FA00280
	v_accvgpr_write_b32 a217, 0                                // 000000005924: D3D940D9 18000080
	v_mov_b32_e32 v209, 0                                      // 00000000592C: 7FA20280
	v_accvgpr_write_b32 a218, 0                                // 000000005930: D3D940DA 18000080
	v_mov_b32_e32 v210, 0                                      // 000000005938: 7FA40280
	v_accvgpr_write_b32 a219, 0                                // 00000000593C: D3D940DB 18000080
	v_mov_b32_e32 v211, 0                                      // 000000005944: 7FA60280
	v_accvgpr_write_b32 a220, 0                                // 000000005948: D3D940DC 18000080
	v_mov_b32_e32 v212, 0                                      // 000000005950: 7FA80280
	v_accvgpr_write_b32 a221, 0                                // 000000005954: D3D940DD 18000080
	v_mov_b32_e32 v213, 0                                      // 00000000595C: 7FAA0280
	v_accvgpr_write_b32 a222, 0                                // 000000005960: D3D940DE 18000080
	v_mov_b32_e32 v214, 0                                      // 000000005968: 7FAC0280
	v_accvgpr_write_b32 a223, 0                                // 00000000596C: D3D940DF 18000080
	v_mov_b32_e32 v215, 0                                      // 000000005974: 7FAE0280
	v_accvgpr_write_b32 a224, 0                                // 000000005978: D3D940E0 18000080
	v_mov_b32_e32 v216, 0                                      // 000000005980: 7FB00280
	v_accvgpr_write_b32 a225, 0                                // 000000005984: D3D940E1 18000080
	v_mov_b32_e32 v217, 0                                      // 00000000598C: 7FB20280
	v_accvgpr_write_b32 a226, 0                                // 000000005990: D3D940E2 18000080
	v_mov_b32_e32 v218, 0                                      // 000000005998: 7FB40280
	v_accvgpr_write_b32 a227, 0                                // 00000000599C: D3D940E3 18000080
	v_mov_b32_e32 v219, 0                                      // 0000000059A4: 7FB60280
	v_accvgpr_write_b32 a228, 0                                // 0000000059A8: D3D940E4 18000080
	v_mov_b32_e32 v220, 0                                      // 0000000059B0: 7FB80280
	v_accvgpr_write_b32 a229, 0                                // 0000000059B4: D3D940E5 18000080
	v_mov_b32_e32 v221, 0                                      // 0000000059BC: 7FBA0280
	v_accvgpr_write_b32 a230, 0                                // 0000000059C0: D3D940E6 18000080
	v_mov_b32_e32 v222, 0                                      // 0000000059C8: 7FBC0280
	v_accvgpr_write_b32 a231, 0                                // 0000000059CC: D3D940E7 18000080
	v_mov_b32_e32 v223, 0                                      // 0000000059D4: 7FBE0280
	v_accvgpr_write_b32 a232, 0                                // 0000000059D8: D3D940E8 18000080
	v_mov_b32_e32 v224, 0                                      // 0000000059E0: 7FC00280
	v_accvgpr_write_b32 a233, 0                                // 0000000059E4: D3D940E9 18000080
	v_mov_b32_e32 v225, 0                                      // 0000000059EC: 7FC20280
	v_accvgpr_write_b32 a234, 0                                // 0000000059F0: D3D940EA 18000080
	v_mov_b32_e32 v226, 0                                      // 0000000059F8: 7FC40280
	v_accvgpr_write_b32 a235, 0                                // 0000000059FC: D3D940EB 18000080
	v_mov_b32_e32 v227, 0                                      // 000000005A04: 7FC60280
	v_accvgpr_write_b32 a236, 0                                // 000000005A08: D3D940EC 18000080
	v_mov_b32_e32 v228, 0                                      // 000000005A10: 7FC80280
	v_accvgpr_write_b32 a237, 0                                // 000000005A14: D3D940ED 18000080
	v_mov_b32_e32 v229, 0                                      // 000000005A1C: 7FCA0280
	v_accvgpr_write_b32 a238, 0                                // 000000005A20: D3D940EE 18000080
	v_mov_b32_e32 v230, 0                                      // 000000005A28: 7FCC0280
	v_accvgpr_write_b32 a239, 0                                // 000000005A2C: D3D940EF 18000080
	v_mov_b32_e32 v231, 0                                      // 000000005A34: 7FCE0280
	v_accvgpr_write_b32 a240, 0                                // 000000005A38: D3D940F0 18000080
	v_mov_b32_e32 v232, 0                                      // 000000005A40: 7FD00280
	v_accvgpr_write_b32 a241, 0                                // 000000005A44: D3D940F1 18000080
	v_mov_b32_e32 v233, 0                                      // 000000005A4C: 7FD20280
	v_accvgpr_write_b32 a242, 0                                // 000000005A50: D3D940F2 18000080
	v_mov_b32_e32 v234, 0                                      // 000000005A58: 7FD40280
	v_accvgpr_write_b32 a243, 0                                // 000000005A5C: D3D940F3 18000080
	v_mov_b32_e32 v235, 0                                      // 000000005A64: 7FD60280
	v_accvgpr_write_b32 a244, 0                                // 000000005A68: D3D940F4 18000080
	v_mov_b32_e32 v236, 0                                      // 000000005A70: 7FD80280
	v_accvgpr_write_b32 a245, 0                                // 000000005A74: D3D940F5 18000080
	v_mov_b32_e32 v237, 0                                      // 000000005A7C: 7FDA0280
	v_accvgpr_write_b32 a246, 0                                // 000000005A80: D3D940F6 18000080
	v_mov_b32_e32 v238, 0                                      // 000000005A88: 7FDC0280
	v_accvgpr_write_b32 a247, 0                                // 000000005A8C: D3D940F7 18000080
	v_mov_b32_e32 v239, 0                                      // 000000005A94: 7FDE0280
	v_accvgpr_write_b32 a248, 0                                // 000000005A98: D3D940F8 18000080
	v_mov_b32_e32 v240, 0                                      // 000000005AA0: 7FE00280
	v_accvgpr_write_b32 a249, 0                                // 000000005AA4: D3D940F9 18000080
	v_mov_b32_e32 v241, 0                                      // 000000005AAC: 7FE20280
	v_accvgpr_write_b32 a250, 0                                // 000000005AB0: D3D940FA 18000080
	v_mov_b32_e32 v242, 0                                      // 000000005AB8: 7FE40280
	v_accvgpr_write_b32 a251, 0                                // 000000005ABC: D3D940FB 18000080
	v_mov_b32_e32 v243, 0                                      // 000000005AC4: 7FE60280
	v_accvgpr_write_b32 a252, 0                                // 000000005AC8: D3D940FC 18000080
	v_mov_b32_e32 v244, 0                                      // 000000005AD0: 7FE80280
	v_accvgpr_write_b32 a253, 0                                // 000000005AD4: D3D940FD 18000080
	v_mov_b32_e32 v245, 0                                      // 000000005ADC: 7FEA0280
	v_accvgpr_write_b32 a254, 0                                // 000000005AE0: D3D940FE 18000080
	v_mov_b32_e32 v246, 0                                      // 000000005AE8: 7FEC0280
	v_accvgpr_write_b32 a255, 0                                // 000000005AEC: D3D940FF 18000080
	v_mov_b32_e32 v247, 0                                      // 000000005AF4: 7FEE0280
	v_mov_b32_e32 v136, 0                                      // 000000005AF8: 7F100280
	v_mov_b32_e32 v137, 0                                      // 000000005AFC: 7F120280
	v_mov_b32_e32 v138, 0                                      // 000000005B00: 7F140280
	v_mov_b32_e32 v139, 0                                      // 000000005B04: 7F160280
	v_mov_b32_e32 v140, 0                                      // 000000005B08: 7F180280
	v_mov_b32_e32 v141, 0                                      // 000000005B0C: 7F1A0280
	v_mov_b32_e32 v142, 0                                      // 000000005B10: 7F1C0280
	v_mov_b32_e32 v143, 0                                      // 000000005B14: 7F1E0280
	v_mov_b32_e32 v128, 0                                      // 000000005B18: 7F000280
	v_mov_b32_e32 v129, 0                                      // 000000005B1C: 7F020280
	v_mov_b32_e32 v130, 0                                      // 000000005B20: 7F040280
	v_mov_b32_e32 v131, 0                                      // 000000005B24: 7F060280
	v_mov_b32_e32 v132, 0                                      // 000000005B28: 7F080280
	v_mov_b32_e32 v133, 0                                      // 000000005B2C: 7F0A0280
	v_mov_b32_e32 v134, 0                                      // 000000005B30: 7F0C0280
	v_mov_b32_e32 v135, 0                                      // 000000005B34: 7F0E0280
	s_waitcnt lgkmcnt(0)                                       // 000000005B38: BF8CC07F
	s_barrier                                                  // 000000005B3C: BF8A0000
	buffer_load_dword v32, v1, s[8:11], 0 idxen                // 000000005B40: E0502000 80022001
	buffer_load_dword v33, v2, s[8:11], 0 idxen                // 000000005B48: E0502000 80022102
	buffer_load_dword v34, v3, s[8:11], 0 idxen                // 000000005B50: E0502000 80022203
	buffer_load_dword v35, v4, s[8:11], 0 idxen                // 000000005B58: E0502000 80022304
	buffer_load_dword v40, v1, s[20:23], 0 idxen               // 000000005B60: E0502000 80052801
	buffer_load_dword v41, v2, s[20:23], 0 idxen               // 000000005B68: E0502000 80052902
	buffer_load_dword v42, v3, s[20:23], 0 idxen               // 000000005B70: E0502000 80052A03
	buffer_load_dword v43, v4, s[20:23], 0 idxen               // 000000005B78: E0502000 80052B04
	buffer_load_dword v9, s[24:27], 0 idxen lds                // 000000005B80: E0512000 80060009
	s_mov_b32 m0, s77                                          // 000000005B88: BEFC004D
	v_add_u32_e32 v9, s69, v9                                  // 000000005B8C: 68121245
	s_add_u32 s8, s68, s8                                      // 000000005B90: 80080844
	s_addc_u32 s9, 0, s9                                       // 000000005B94: 82090980
	s_add_u32 s20, s68, s20                                    // 000000005B98: 80141444
	s_addc_u32 s21, 0, s21                                     // 000000005B9C: 82151580
	v_mul_f32_e32 v124, s49, v124                              // 000000005BA0: 0AF8F831
	v_perm_b32 v84, v37, v36, s63                              // 000000005BA4: D1ED0054 00FE4925
	v_perm_b32 v85, v37, v36, s64                              // 000000005BAC: D1ED0055 01024925
	v_perm_b32 v86, v39, v38, s63                              // 000000005BB4: D1ED0056 00FE4D27
	v_perm_b32 v87, v39, v38, s64                              // 000000005BBC: D1ED0057 01024D27
	v_perm_b32 v88, v45, v44, s63                              // 000000005BC4: D1ED0058 00FE592D
	v_perm_b32 v89, v45, v44, s64                              // 000000005BCC: D1ED0059 0102592D
	v_perm_b32 v90, v47, v46, s63                              // 000000005BD4: D1ED005A 00FE5D2F
	v_perm_b32 v91, v47, v46, s64                              // 000000005BDC: D1ED005B 01025D2F
	v_mov_b32_dpp v127, v124 quad_perm:[3,3,3,3] row_mask:0xf bank_mask:0xf// 000000005BE4: 7EFE02FA FF00FF7C
	v_mov_b32_dpp v126, v124 quad_perm:[2,2,2,2] row_mask:0xf bank_mask:0xf// 000000005BEC: 7EFC02FA FF00AA7C
	v_mov_b32_dpp v125, v124 quad_perm:[1,1,1,1] row_mask:0xf bank_mask:0xf// 000000005BF4: 7EFA02FA FF00557C
	v_mov_b32_dpp v124, v124 quad_perm:[0,0,0,0] row_mask:0xf bank_mask:0xf// 000000005BFC: 7EF802FA FF00007C
	s_waitcnt vmcnt(9)                                         // 000000005C04: BF8C0F79
	s_barrier                                                  // 000000005C08: BF8A0000
	s_cmp_lt_i32 s47, 2                                        // 000000005C0C: BF04822F
	s_cbranch_scc0 label_0D3D                                  // 000000005C10: BF8405B8
	s_nop 0                                                    // 000000005C14: BF800000
	s_nop 0                                                    // 000000005C18: BF800000

0000000000005c1c <label_0787>:
	s_waitcnt lgkmcnt(4)                                       // 000000005C1C: BF8CC47F
	s_barrier                                                  // 000000005C20: BF8A0000
	v_mfma_f32_16x16x16_bf16 v[48:51], a[144:145], a[0:1], 0   // 000000005C24: D3E10030 1A020190
	ds_write_b32 v11, v44 offset:8704                          // 000000005C2C: D81A2200 00002C0B
	ds_write_b32 v11, v45 offset:9760                          // 000000005C34: D81A2620 00002D0B
	v_mfma_f32_16x16x16_bf16 v[48:51], a[146:147], a[2:3], v[48:51]// 000000005C3C: D3E10030 1CC20592
	v_mul_f32_e32 v128, s48, v128                              // 000000005C44: 0B010030
	v_mul_f32_e32 v129, s48, v129                              // 000000005C48: 0B030230
	v_mfma_f32_16x16x16_bf16 v[48:51], a[148:149], a[4:5], v[48:51]// 000000005C4C: D3E10030 1CC20994
	ds_write_b32 v11, v46 offset:8832                          // 000000005C54: D81A2280 00002E0B
	ds_write_b32 v11, v47 offset:9888                          // 000000005C5C: D81A26A0 00002F0B
	v_mfma_f32_16x16x16_bf16 v[48:51], a[150:151], a[6:7], v[48:51]// 000000005C64: D3E10030 1CC20D96
	v_mul_f32_e32 v130, s48, v130                              // 000000005C6C: 0B050430
	v_mul_f32_e32 v131, s48, v131                              // 000000005C70: 0B070630
	v_mfma_f32_16x16x16_bf16 v[48:51], a[152:153], a[8:9], v[48:51]// 000000005C74: D3E10030 1CC21198
	ds_write_b64 v20, v[128:129] offset:24320                  // 000000005C7C: D89A5F00 00008014
	v_mfma_f32_16x16x16_bf16 v[48:51], a[154:155], a[10:11], v[48:51]// 000000005C84: D3E10030 1CC2159A
	v_mul_f32_e32 v132, s48, v132                              // 000000005C8C: 0B090830
	v_mul_f32_e32 v133, s48, v133                              // 000000005C90: 0B0B0A30
	v_mfma_f32_16x16x16_bf16 v[48:51], a[156:157], a[12:13], v[48:51]// 000000005C94: D3E10030 1CC2199C
	ds_write_b64 v20, v[130:131] offset:24832                  // 000000005C9C: D89A6100 00008214
	v_mfma_f32_16x16x16_bf16 v[48:51], a[158:159], a[14:15], v[48:51]// 000000005CA4: D3E10030 1CC21D9E
	v_mul_f32_e32 v134, s48, v134                              // 000000005CAC: 0B0D0C30
	v_mul_f32_e32 v135, s48, v135                              // 000000005CB0: 0B0F0E30
	v_mfma_f32_16x16x16_bf16 v[52:55], a[144:145], a[16:17], 0 // 000000005CB4: D3E10034 1A022190
	ds_write_b64 v20, v[132:133] offset:25344                  // 000000005CBC: D89A6300 00008414
	v_mfma_f32_16x16x16_bf16 v[52:55], a[146:147], a[18:19], v[52:55]// 000000005CC4: D3E10034 1CD22592
	buffer_atomic_add_f32 v140, v7, s[32:35], 0 idxen offset:256// 000000005CCC: E1342100 80088C07
	v_mfma_f32_16x16x16_bf16 v[52:55], a[148:149], a[20:21], v[52:55]// 000000005CD4: D3E10034 1CD22994
	ds_write_b64 v20, v[134:135] offset:25856                  // 000000005CDC: D89A6500 00008614
	v_mfma_f32_16x16x16_bf16 v[52:55], a[150:151], a[22:23], v[52:55]// 000000005CE4: D3E10034 1CD22D96
	v_mfma_f32_16x16x16_bf16 v[52:55], a[152:153], a[24:25], v[52:55]// 000000005CEC: D3E10034 1CD23198
	ds_read_b128 v[108:111], v12 offset:13056                  // 000000005CF4: D9FE3300 6C00000C
	ds_write_b32 v11, v36                                      // 000000005CFC: D81A0000 0000240B
	v_mfma_f32_16x16x16_bf16 v[52:55], a[154:155], a[26:27], v[52:55]// 000000005D04: D3E10034 1CD2359A
	buffer_atomic_add_f32 v141, v8, s[32:35], 0 idxen offset:256// 000000005D0C: E1342100 80088D08
	v_mfma_f32_16x16x16_bf16 v[52:55], a[156:157], a[28:29], v[52:55]// 000000005D14: D3E10034 1CD2399C
	v_mfma_f32_16x16x16_bf16 v[52:55], a[158:159], a[30:31], v[52:55]// 000000005D1C: D3E10034 1CD23D9E
	ds_read_b128 v[112:115], v12 offset:13568                  // 000000005D24: D9FE3500 7000000C
	ds_write_b32 v11, v37 offset:1056                          // 000000005D2C: D81A0420 0000250B
	v_mfma_f32_16x16x16_bf16 v[56:59], a[144:145], a[32:33], 0 // 000000005D34: D3E10038 1A024190
	buffer_atomic_add_f32 v142, v7, s[32:35], 0 idxen offset:384// 000000005D3C: E1342180 80088E07
	v_mfma_f32_16x16x16_bf16 v[56:59], a[146:147], a[34:35], v[56:59]// 000000005D44: D3E10038 1CE24592
	v_mfma_f32_16x16x16_bf16 v[56:59], a[148:149], a[36:37], v[56:59]// 000000005D4C: D3E10038 1CE24994
	ds_read_b128 v[116:119], v12 offset:15232                  // 000000005D54: D9FE3B80 7400000C
	ds_write_b32 v11, v38 offset:128                           // 000000005D5C: D81A0080 0000260B
	v_mfma_f32_16x16x16_bf16 v[56:59], a[150:151], a[38:39], v[56:59]// 000000005D64: D3E10038 1CE24D96
	v_mfma_f32_16x16x16_bf16 v[56:59], a[152:153], a[40:41], v[56:59]// 000000005D6C: D3E10038 1CE25198
	buffer_atomic_add_f32 v143, v8, s[32:35], 0 idxen offset:384// 000000005D74: E1342180 80088F08
	v_mfma_f32_16x16x16_bf16 v[56:59], a[154:155], a[42:43], v[56:59]// 000000005D7C: D3E10038 1CE2559A
	ds_read_b128 v[120:123], v12 offset:15744                  // 000000005D84: D9FE3D80 7800000C
	ds_write_b32 v11, v39 offset:1184                          // 000000005D8C: D81A04A0 0000270B
	v_mfma_f32_16x16x16_bf16 v[56:59], a[156:157], a[44:45], v[56:59]// 000000005D94: D3E10038 1CE2599C
	v_mfma_f32_16x16x16_bf16 v[56:59], a[158:159], a[46:47], v[56:59]// 000000005D9C: D3E10038 1CE25D9E
	s_cmp_lt_i32 s73, 3                                        // 000000005DA4: BF048349
	s_cbranch_scc0 label_07FA                                  // 000000005DA8: BF84000F
	s_cmp_eq_i32 s73, 1                                        // 000000005DAC: BF008149
	s_cbranch_scc1 label_07F0                                  // 000000005DB0: BF850003
	s_cmp_eq_i32 s73, 2                                        // 000000005DB4: BF008249
	s_cbranch_scc1 label_07F5                                  // 000000005DB8: BF850006
	s_branch label_07FA                                        // 000000005DBC: BF82000A

0000000000005dc0 <label_07F0>:
	v_mov_b32_e32 v52, v151                                    // 000000005DC0: 7E680397
	v_mov_b32_e32 v53, v151                                    // 000000005DC4: 7E6A0397
	v_mov_b32_e32 v54, v151                                    // 000000005DC8: 7E6C0397
	v_mov_b32_e32 v55, v151                                    // 000000005DCC: 7E6E0397
	s_branch label_07F5                                        // 000000005DD0: BF820000

0000000000005dd4 <label_07F5>:
	v_mov_b32_e32 v56, v151                                    // 000000005DD4: 7E700397
	v_mov_b32_e32 v57, v151                                    // 000000005DD8: 7E720397
	v_mov_b32_e32 v58, v151                                    // 000000005DDC: 7E740397
	v_mov_b32_e32 v59, v151                                    // 000000005DE0: 7E760397
	s_branch label_07FA                                        // 000000005DE4: BF820000

0000000000005de8 <label_07FA>:
	s_waitcnt lgkmcnt(8)                                       // 000000005DE8: BF8CC87F
	s_barrier                                                  // 000000005DEC: BF8A0000
	v_mfma_f32_16x16x16_bf16 v[72:75], v[92:93], a[96:97], 0   // 000000005DF0: D3E10048 1202C15C
	ds_read_b128 a[144:147], v12 offset:4352                   // 000000005DF8: DBFE1100 9000000C
	ds_read_b128 a[148:151], v12 offset:4864                   // 000000005E00: DBFE1300 9400000C
	v_mfma_f32_16x16x16_bf16 v[72:75], v[94:95], a[98:99], v[72:75]// 000000005E08: D3E10048 1522C55E
	v_fma_f32 v48, v48, s57, -v124                             // 000000005E10: D1CB0030 85F07330
	v_fma_f32 v49, v49, s57, -v125                             // 000000005E18: D1CB0031 85F47331
	v_fma_f32 v50, v50, s57, -v126                             // 000000005E20: D1CB0032 85F87332
	v_mfma_f32_16x16x16_bf16 v[72:75], v[96:97], a[100:101], v[72:75]// 000000005E28: D3E10048 1522C960
	v_fma_f32 v51, v51, s57, -v127                             // 000000005E30: D1CB0033 85FC7333
	v_fma_f32 v52, v52, s57, -v124                             // 000000005E38: D1CB0034 85F07334
	v_fma_f32 v53, v53, s57, -v125                             // 000000005E40: D1CB0035 85F47335
	v_mfma_f32_16x16x16_bf16 v[72:75], v[98:99], a[102:103], v[72:75]// 000000005E48: D3E10048 1522CD62
	v_fma_f32 v54, v54, s57, -v126                             // 000000005E50: D1CB0036 85F87336
	v_fma_f32 v55, v55, s57, -v127                             // 000000005E58: D1CB0037 85FC7337
	v_fma_f32 v56, v56, s57, -v124                             // 000000005E60: D1CB0038 85F07338
	v_mfma_f32_16x16x16_bf16 v[72:75], v[100:101], a[104:105], v[72:75]// 000000005E68: D3E10048 1522D164
	ds_read_b128 a[152:155], v12 offset:6528                   // 000000005E70: DBFE1980 9800000C
	ds_read_b128 a[156:159], v12 offset:7040                   // 000000005E78: DBFE1B80 9C00000C
	v_mfma_f32_16x16x16_bf16 v[72:75], v[102:103], a[106:107], v[72:75]// 000000005E80: D3E10048 1522D566
	v_fma_f32 v57, v57, s57, -v125                             // 000000005E88: D1CB0039 85F47339
	v_fma_f32 v58, v58, s57, -v126                             // 000000005E90: D1CB003A 85F8733A
	v_fma_f32 v59, v59, s57, -v127                             // 000000005E98: D1CB003B 85FC733B
	v_mfma_f32_16x16x16_bf16 v[72:75], v[104:105], a[108:109], v[72:75]// 000000005EA0: D3E10048 1522D968
	v_exp_f32_e32 v48, v48                                     // 000000005EA8: 7E604130
	v_mfma_f32_16x16x16_bf16 v[72:75], v[106:107], a[110:111], v[72:75]// 000000005EAC: D3E10048 1522DD6A
	v_exp_f32_e32 v49, v49                                     // 000000005EB4: 7E624131
	v_mfma_f32_16x16x16_bf16 v[76:79], v[92:93], a[112:113], 0 // 000000005EB8: D3E1004C 1202E15C
	ds_read_b64 v[136:137], v19 offset:24320                   // 000000005EC0: D8EC5F00 88000013
	ds_read_b64 v[138:139], v19 offset:26368                   // 000000005EC8: D8EC6700 8A000013
	v_mfma_f32_16x16x16_bf16 v[76:79], v[94:95], a[114:115], v[76:79]// 000000005ED0: D3E1004C 1532E55E
	v_exp_f32_e32 v50, v50                                     // 000000005ED8: 7E644132
	v_mfma_f32_16x16x16_bf16 v[76:79], v[96:97], a[116:117], v[76:79]// 000000005EDC: D3E1004C 1532E960
	ds_read_b64 v[140:141], v19 offset:28416                   // 000000005EE4: D8EC6F00 8C000013
	ds_read_b64 v[142:143], v19 offset:30464                   // 000000005EEC: D8EC7700 8E000013
	v_mfma_f32_16x16x16_bf16 v[76:79], v[98:99], a[118:119], v[76:79]// 000000005EF4: D3E1004C 1532ED62
	v_exp_f32_e32 v51, v51                                     // 000000005EFC: 7E664133
	v_mfma_f32_16x16x16_bf16 v[76:79], v[100:101], a[120:121], v[76:79]// 000000005F00: D3E1004C 1532F164
	v_exp_f32_e32 v52, v52                                     // 000000005F08: 7E684134
	v_mfma_f32_16x16x16_bf16 v[76:79], v[102:103], a[122:123], v[76:79]// 000000005F0C: D3E1004C 1532F566
	v_exp_f32_e32 v53, v53                                     // 000000005F14: 7E6A4135
	v_mfma_f32_16x16x16_bf16 v[76:79], v[104:105], a[124:125], v[76:79]// 000000005F18: D3E1004C 1532F968
	v_exp_f32_e32 v54, v54                                     // 000000005F20: 7E6C4136
	v_mfma_f32_16x16x16_bf16 v[76:79], v[106:107], a[126:127], v[76:79]// 000000005F24: D3E1004C 1532FD6A
	v_exp_f32_e32 v55, v55                                     // 000000005F2C: 7E6E4137
	v_mfma_f32_16x16x16_bf16 v[80:83], v[92:93], a[128:129], 0 // 000000005F30: D3E10050 1203015C
	v_exp_f32_e32 v56, v56                                     // 000000005F38: 7E704138
	v_mfma_f32_16x16x16_bf16 v[80:83], v[94:95], a[130:131], v[80:83]// 000000005F3C: D3E10050 1543055E
	v_exp_f32_e32 v57, v57                                     // 000000005F44: 7E724139
	v_mfma_f32_16x16x16_bf16 v[80:83], v[96:97], a[132:133], v[80:83]// 000000005F48: D3E10050 15430960
	v_exp_f32_e32 v58, v58                                     // 000000005F50: 7E74413A
	v_mfma_f32_16x16x16_bf16 v[80:83], v[98:99], a[134:135], v[80:83]// 000000005F54: D3E10050 15430D62
	v_exp_f32_e32 v59, v59                                     // 000000005F5C: 7E76413B
	v_mfma_f32_16x16x16_bf16 v[80:83], v[100:101], a[136:137], v[80:83]// 000000005F60: D3E10050 15431164
	v_cmp_u_f32_e64 s[74:75], v48, v48                         // 000000005F68: D048004A 00026130
	v_add3_u32 v248, v48, v251, 1                              // 000000005F70: D1FF00F8 0207F730
	v_cndmask_b32_e64 v28, v248, v250, s[74:75]                // 000000005F78: D100001C 012BF5F8
	v_cmp_u_f32_e64 s[74:75], v49, v49                         // 000000005F80: D048004A 00026331
	v_add3_u32 v248, v49, v251, 1                              // 000000005F88: D1FF00F8 0207F731
	v_cndmask_b32_e64 v29, v248, v250, s[74:75]                // 000000005F90: D100001D 012BF5F8
	v_perm_b32 v144, v29, v28, s64                             // 000000005F98: D1ED0090 0102391D
	v_cmp_u_f32_e64 s[74:75], v50, v50                         // 000000005FA0: D048004A 00026532
	v_add3_u32 v248, v50, v251, 1                              // 000000005FA8: D1FF00F8 0207F732
	v_cndmask_b32_e64 v28, v248, v250, s[74:75]                // 000000005FB0: D100001C 012BF5F8
	v_cmp_u_f32_e64 s[74:75], v51, v51                         // 000000005FB8: D048004A 00026733
	v_add3_u32 v248, v51, v251, 1                              // 000000005FC0: D1FF00F8 0207F733
	v_cndmask_b32_e64 v29, v248, v250, s[74:75]                // 000000005FC8: D100001D 012BF5F8
	v_perm_b32 v145, v29, v28, s64                             // 000000005FD0: D1ED0091 0102391D
	v_cmp_u_f32_e64 s[74:75], v52, v52                         // 000000005FD8: D048004A 00026934
	v_add3_u32 v248, v52, v251, 1                              // 000000005FE0: D1FF00F8 0207F734
	v_cndmask_b32_e64 v28, v248, v250, s[74:75]                // 000000005FE8: D100001C 012BF5F8
	v_cmp_u_f32_e64 s[74:75], v53, v53                         // 000000005FF0: D048004A 00026B35
	v_add3_u32 v248, v53, v251, 1                              // 000000005FF8: D1FF00F8 0207F735
	v_cndmask_b32_e64 v29, v248, v250, s[74:75]                // 000000006000: D100001D 012BF5F8
	v_perm_b32 v146, v29, v28, s64                             // 000000006008: D1ED0092 0102391D
	v_mfma_f32_16x16x16_bf16 v[80:83], v[102:103], a[138:139], v[80:83]// 000000006010: D3E10050 15431566
	v_cmp_u_f32_e64 s[74:75], v54, v54                         // 000000006018: D048004A 00026D36
	v_add3_u32 v248, v54, v251, 1                              // 000000006020: D1FF00F8 0207F736
	v_cndmask_b32_e64 v28, v248, v250, s[74:75]                // 000000006028: D100001C 012BF5F8
	v_cmp_u_f32_e64 s[74:75], v55, v55                         // 000000006030: D048004A 00026F37
	v_add3_u32 v248, v55, v251, 1                              // 000000006038: D1FF00F8 0207F737
	v_cndmask_b32_e64 v29, v248, v250, s[74:75]                // 000000006040: D100001D 012BF5F8
	v_perm_b32 v147, v29, v28, s64                             // 000000006048: D1ED0093 0102391D
	v_cmp_u_f32_e64 s[74:75], v56, v56                         // 000000006050: D048004A 00027138
	v_add3_u32 v248, v56, v251, 1                              // 000000006058: D1FF00F8 0207F738
	v_cndmask_b32_e64 v28, v248, v250, s[74:75]                // 000000006060: D100001C 012BF5F8
	v_cmp_u_f32_e64 s[74:75], v57, v57                         // 000000006068: D048004A 00027339
	v_add3_u32 v248, v57, v251, 1                              // 000000006070: D1FF00F8 0207F739
	v_cndmask_b32_e64 v29, v248, v250, s[74:75]                // 000000006078: D100001D 012BF5F8
	v_perm_b32 v148, v29, v28, s64                             // 000000006080: D1ED0094 0102391D
	v_cmp_u_f32_e64 s[74:75], v58, v58                         // 000000006088: D048004A 0002753A
	v_add3_u32 v248, v58, v251, 1                              // 000000006090: D1FF00F8 0207F73A
	v_cndmask_b32_e64 v28, v248, v250, s[74:75]                // 000000006098: D100001C 012BF5F8
	v_cmp_u_f32_e64 s[74:75], v59, v59                         // 0000000060A0: D048004A 0002773B
	v_add3_u32 v248, v59, v251, 1                              // 0000000060A8: D1FF00F8 0207F73B
	v_cndmask_b32_e64 v29, v248, v250, s[74:75]                // 0000000060B0: D100001D 012BF5F8
	v_perm_b32 v149, v29, v28, s64                             // 0000000060B8: D1ED0095 0102391D
	v_mfma_f32_16x16x16_bf16 v[80:83], v[104:105], a[140:141], v[80:83]// 0000000060C0: D3E10050 15431968
	s_add_u32 s32, s66, s32                                    // 0000000060C8: 80202042
	s_addc_u32 s33, 0, s33                                     // 0000000060CC: 82212180
	v_mfma_f32_16x16x16_bf16 v[80:83], v[106:107], a[142:143], v[80:83]// 0000000060D0: D3E10050 15431D6A
	s_waitcnt lgkmcnt(0)                                       // 0000000060D8: BF8CC07F
	s_barrier                                                  // 0000000060DC: BF8A0000
	v_mfma_f32_16x16x16_bf16 v[152:155], v[108:109], v[144:145], v[152:155]// 0000000060E0: D3E10098 0663216C
	v_subrev_f32_dpp v72, v150, v72 quad_perm:[0,0,0,0] row_mask:0xf bank_mask:0xf// 0000000060E8: 069090FA FF000096
	v_subrev_f32_dpp v73, v150, v73 quad_perm:[1,1,1,1] row_mask:0xf bank_mask:0xf// 0000000060F0: 069292FA FF005596
	v_subrev_f32_dpp v74, v150, v74 quad_perm:[2,2,2,2] row_mask:0xf bank_mask:0xf// 0000000060F8: 069494FA FF00AA96
	v_mfma_f32_16x16x16_bf16 v[156:159], v[110:111], v[144:145], v[156:159]// 000000006100: D3E1009C 0673216E
	v_subrev_f32_dpp v75, v150, v75 quad_perm:[3,3,3,3] row_mask:0xf bank_mask:0xf// 000000006108: 069696FA FF00FF96
	v_subrev_f32_dpp v76, v150, v76 quad_perm:[0,0,0,0] row_mask:0xf bank_mask:0xf// 000000006110: 069898FA FF000096
	v_subrev_f32_dpp v77, v150, v77 quad_perm:[1,1,1,1] row_mask:0xf bank_mask:0xf// 000000006118: 069A9AFA FF005596
	v_mfma_f32_16x16x16_bf16 v[160:163], v[112:113], v[144:145], v[160:163]// 000000006120: D3E100A0 06832170
	v_mul_f32_e32 v72, v48, v72                                // 000000006128: 0A909130
	v_mul_f32_e32 v73, v49, v73                                // 00000000612C: 0A929331
	v_mul_f32_e32 v74, v50, v74                                // 000000006130: 0A949532
	v_mfma_f32_16x16x16_bf16 v[164:167], v[114:115], v[144:145], v[164:167]// 000000006134: D3E100A4 06932172
	v_mul_f32_e32 v75, v51, v75                                // 00000000613C: 0A969733
	v_mul_f32_e32 v76, v52, v76                                // 000000006140: 0A989934
	v_mul_f32_e32 v77, v53, v77                                // 000000006144: 0A9A9B35
	v_mfma_f32_16x16x16_bf16 v[168:171], v[116:117], v[144:145], v[168:171]// 000000006148: D3E100A8 06A32174
	v_cmp_u_f32_e64 s[74:75], v72, v72                         // 000000006150: D048004A 00029148
	v_add3_u32 v248, v72, v251, 1                              // 000000006158: D1FF00F8 0207F748
	v_cndmask_b32_e64 v28, v248, v250, s[74:75]                // 000000006160: D100001C 012BF5F8
	v_cmp_u_f32_e64 s[74:75], v73, v73                         // 000000006168: D048004A 00029349
	v_add3_u32 v248, v73, v251, 1                              // 000000006170: D1FF00F8 0207F749
	v_cndmask_b32_e64 v29, v248, v250, s[74:75]                // 000000006178: D100001D 012BF5F8
	v_perm_b32 v72, v29, v28, s64                              // 000000006180: D1ED0048 0102391D
	v_cmp_u_f32_e64 s[74:75], v74, v74                         // 000000006188: D048004A 0002954A
	v_add3_u32 v248, v74, v251, 1                              // 000000006190: D1FF00F8 0207F74A
	v_cndmask_b32_e64 v28, v248, v250, s[74:75]                // 000000006198: D100001C 012BF5F8
	v_cmp_u_f32_e64 s[74:75], v75, v75                         // 0000000061A0: D048004A 0002974B
	v_add3_u32 v248, v75, v251, 1                              // 0000000061A8: D1FF00F8 0207F74B
	v_cndmask_b32_e64 v29, v248, v250, s[74:75]                // 0000000061B0: D100001D 012BF5F8
	v_perm_b32 v73, v29, v28, s64                              // 0000000061B8: D1ED0049 0102391D
	v_cmp_u_f32_e64 s[74:75], v76, v76                         // 0000000061C0: D048004A 0002994C
	v_add3_u32 v248, v76, v251, 1                              // 0000000061C8: D1FF00F8 0207F74C
	v_cndmask_b32_e64 v28, v248, v250, s[74:75]                // 0000000061D0: D100001C 012BF5F8
	v_cmp_u_f32_e64 s[74:75], v77, v77                         // 0000000061D8: D048004A 00029B4D
	v_add3_u32 v248, v77, v251, 1                              // 0000000061E0: D1FF00F8 0207F74D
	v_cndmask_b32_e64 v29, v248, v250, s[74:75]                // 0000000061E8: D100001D 012BF5F8
	v_perm_b32 v74, v29, v28, s64                              // 0000000061F0: D1ED004A 0102391D
	v_mfma_f32_16x16x16_bf16 v[172:175], v[118:119], v[144:145], v[172:175]// 0000000061F8: D3E100AC 06B32176
	v_mov_b32_dpp v16, v72 quad_perm:[1,0,3,2] row_mask:0xf bank_mask:0xf// 000000006200: 7E2002FA FF00B148
	v_perm_b32 v48, v16, v72, v15                              // 000000006208: D1ED0030 043E9110
	v_mov_b32_dpp v16, v73 quad_perm:[1,0,3,2] row_mask:0xf bank_mask:0xf// 000000006210: 7E2002FA FF00B149
	v_mfma_f32_16x16x16_bf16 v[176:179], v[120:121], v[144:145], v[176:179]// 000000006218: D3E100B0 06C32178
	v_perm_b32 v49, v16, v73, v15                              // 000000006220: D1ED0031 043E9310
	v_mov_b32_dpp v16, v74 quad_perm:[1,0,3,2] row_mask:0xf bank_mask:0xf// 000000006228: 7E2002FA FF00B14A
	v_perm_b32 v50, v16, v74, v15                              // 000000006230: D1ED0032 043E9510
	v_mfma_f32_16x16x16_bf16 v[180:183], v[122:123], v[144:145], v[180:183]// 000000006238: D3E100B4 06D3217A
	ds_write_b32 v18, v48 offset:17408                         // 000000006240: D81A4400 00003012
	v_mfma_f32_16x16x16_bf16 v[184:187], v[108:109], v[146:147], v[184:187]// 000000006248: D3E100B8 06E3256C
	v_subrev_f32_dpp v78, v150, v78 quad_perm:[2,2,2,2] row_mask:0xf bank_mask:0xf// 000000006250: 069C9CFA FF00AA96
	v_subrev_f32_dpp v79, v150, v79 quad_perm:[3,3,3,3] row_mask:0xf bank_mask:0xf// 000000006258: 069E9EFA FF00FF96
	v_subrev_f32_dpp v80, v150, v80 quad_perm:[0,0,0,0] row_mask:0xf bank_mask:0xf// 000000006260: 06A0A0FA FF000096
	v_mfma_f32_16x16x16_bf16 v[188:191], v[110:111], v[146:147], v[188:191]// 000000006268: D3E100BC 06F3256E
	ds_write_b32 v18, v49 offset:17952                         // 000000006270: D81A4620 00003112
	v_mfma_f32_16x16x16_bf16 v[192:195], v[112:113], v[146:147], v[192:195]// 000000006278: D3E100C0 07032570
	v_subrev_f32_dpp v81, v150, v81 quad_perm:[1,1,1,1] row_mask:0xf bank_mask:0xf// 000000006280: 06A2A2FA FF005596
	v_subrev_f32_dpp v82, v150, v82 quad_perm:[2,2,2,2] row_mask:0xf bank_mask:0xf// 000000006288: 06A4A4FA FF00AA96
	v_subrev_f32_dpp v83, v150, v83 quad_perm:[3,3,3,3] row_mask:0xf bank_mask:0xf// 000000006290: 06A6A6FA FF00FF96
	v_mfma_f32_16x16x16_bf16 v[196:199], v[114:115], v[146:147], v[196:199]// 000000006298: D3E100C4 07132572
	ds_write_b32 v18, v50 offset:19712                         // 0000000062A0: D81A4D00 00003212
	v_mfma_f32_16x16x16_bf16 v[200:203], v[116:117], v[146:147], v[200:203]// 0000000062A8: D3E100C8 07232574
	v_mul_f32_e32 v78, v54, v78                                // 0000000062B0: 0A9C9D36
	v_mul_f32_e32 v79, v55, v79                                // 0000000062B4: 0A9E9F37
	v_mul_f32_e32 v80, v56, v80                                // 0000000062B8: 0AA0A138
	v_mfma_f32_16x16x16_bf16 v[204:207], v[118:119], v[146:147], v[204:207]// 0000000062BC: D3E100CC 07332576
	v_mul_f32_e32 v81, v57, v81                                // 0000000062C4: 0AA2A339
	v_mul_f32_e32 v82, v58, v82                                // 0000000062C8: 0AA4A53A
	v_mul_f32_e32 v83, v59, v83                                // 0000000062CC: 0AA6A73B
	v_mfma_f32_16x16x16_bf16 v[208:211], v[120:121], v[146:147], v[208:211]// 0000000062D0: D3E100D0 07432578
	v_cmp_u_f32_e64 s[74:75], v78, v78                         // 0000000062D8: D048004A 00029D4E
	v_add3_u32 v248, v78, v251, 1                              // 0000000062E0: D1FF00F8 0207F74E
	v_cndmask_b32_e64 v28, v248, v250, s[74:75]                // 0000000062E8: D100001C 012BF5F8
	v_cmp_u_f32_e64 s[74:75], v79, v79                         // 0000000062F0: D048004A 00029F4F
	v_add3_u32 v248, v79, v251, 1                              // 0000000062F8: D1FF00F8 0207F74F
	v_cndmask_b32_e64 v29, v248, v250, s[74:75]                // 000000006300: D100001D 012BF5F8
	v_perm_b32 v75, v29, v28, s64                              // 000000006308: D1ED004B 0102391D
	v_cmp_u_f32_e64 s[74:75], v80, v80                         // 000000006310: D048004A 0002A150
	v_add3_u32 v248, v80, v251, 1                              // 000000006318: D1FF00F8 0207F750
	v_cndmask_b32_e64 v28, v248, v250, s[74:75]                // 000000006320: D100001C 012BF5F8
	v_cmp_u_f32_e64 s[74:75], v81, v81                         // 000000006328: D048004A 0002A351
	v_add3_u32 v248, v81, v251, 1                              // 000000006330: D1FF00F8 0207F751
	v_cndmask_b32_e64 v29, v248, v250, s[74:75]                // 000000006338: D100001D 012BF5F8
	v_perm_b32 v76, v29, v28, s64                              // 000000006340: D1ED004C 0102391D
	v_cmp_u_f32_e64 s[74:75], v82, v82                         // 000000006348: D048004A 0002A552
	v_add3_u32 v248, v82, v251, 1                              // 000000006350: D1FF00F8 0207F752
	v_cndmask_b32_e64 v28, v248, v250, s[74:75]                // 000000006358: D100001C 012BF5F8
	v_cmp_u_f32_e64 s[74:75], v83, v83                         // 000000006360: D048004A 0002A753
	v_add3_u32 v248, v83, v251, 1                              // 000000006368: D1FF00F8 0207F753
	v_cndmask_b32_e64 v29, v248, v250, s[74:75]                // 000000006370: D100001D 012BF5F8
	v_perm_b32 v77, v29, v28, s64                              // 000000006378: D1ED004D 0102391D
	v_mfma_f32_16x16x16_bf16 v[212:215], v[122:123], v[146:147], v[212:215]// 000000006380: D3E100D4 0753257A
	v_mov_b32_dpp v16, v75 quad_perm:[1,0,3,2] row_mask:0xf bank_mask:0xf// 000000006388: 7E2002FA FF00B14B
	v_perm_b32 v51, v16, v75, v15                              // 000000006390: D1ED0033 043E9710
	v_mov_b32_dpp v16, v76 quad_perm:[1,0,3,2] row_mask:0xf bank_mask:0xf// 000000006398: 7E2002FA FF00B14C
	v_mfma_f32_16x16x16_bf16 v[216:219], v[108:109], v[148:149], v[216:219]// 0000000063A0: D3E100D8 0763296C
	v_perm_b32 v52, v16, v76, v15                              // 0000000063A8: D1ED0034 043E9910
	v_mov_b32_dpp v16, v77 quad_perm:[1,0,3,2] row_mask:0xf bank_mask:0xf// 0000000063B0: 7E2002FA FF00B14D
	v_perm_b32 v53, v16, v77, v15                              // 0000000063B8: D1ED0035 043E9B10
	v_mfma_f32_16x16x16_bf16 v[220:223], v[110:111], v[148:149], v[220:223]// 0000000063C0: D3E100DC 0773296E
	ds_write_b32 v18, v51 offset:20256                         // 0000000063C8: D81A4F20 00003312
	v_mfma_f32_16x16x16_bf16 v[224:227], v[112:113], v[148:149], v[224:227]// 0000000063D0: D3E100E0 07832970
	v_mfma_f32_16x16x16_bf16 v[228:231], v[114:115], v[148:149], v[228:231]// 0000000063D8: D3E100E4 07932972
	ds_write_b32 v18, v52 offset:22016                         // 0000000063E0: D81A5600 00003412
	ds_write_b32 v18, v53 offset:22560                         // 0000000063E8: D81A5820 00003512
	v_mfma_f32_16x16x16_bf16 v[232:235], v[116:117], v[148:149], v[232:235]// 0000000063F0: D3E100E8 07A32974
	v_mfma_f32_16x16x16_bf16 v[236:239], v[118:119], v[148:149], v[236:239]// 0000000063F8: D3E100EC 07B32976
	ds_write_b32 v13, v84 offset:4352                          // 000000006400: D81A1100 0000540D
	ds_write_b32 v13, v85 offset:5408                          // 000000006408: D81A1520 0000550D
	v_mfma_f32_16x16x16_bf16 v[240:243], v[120:121], v[148:149], v[240:243]// 000000006410: D3E100F0 07C32978
	s_nop 0                                                    // 000000006418: BF800000
	s_nop 0                                                    // 00000000641C: BF800000
	s_nop 0                                                    // 000000006420: BF800000
	v_mfma_f32_16x16x16_bf16 v[244:247], v[122:123], v[148:149], v[244:247]// 000000006424: D3E100F4 07D3297A
	ds_write_b32 v13, v86 offset:4480                          // 00000000642C: D81A1180 0000560D
	ds_write_b32 v13, v87 offset:5536                          // 000000006434: D81A15A0 0000570D
	s_barrier                                                  // 00000000643C: BF8A0000
	v_mfma_f32_16x16x16_bf16 a[160:163], a[144:145], v[72:73], a[160:163]// 000000006440: D3E180A0 0E829190
	buffer_atomic_add_f32 v136, v7, s[32:35], 0 idxen          // 000000006448: E1342000 80088807
	v_mfma_f32_16x16x16_bf16 a[164:167], a[146:147], v[72:73], a[164:167]// 000000006450: D3E180A4 0E929192
	ds_read_b32 v124, v21 offset:51200                         // 000000006458: D86CC800 7C000015
	ds_read_b32 v150, v21 offset:51456                         // 000000006460: D86CC900 96000015
	v_mfma_f32_16x16x16_bf16 a[168:171], a[148:149], v[72:73], a[168:171]// 000000006468: D3E180A8 0EA29194
	s_waitcnt lgkmcnt(6)                                       // 000000006470: BF8CC67F
	s_barrier                                                  // 000000006474: BF8A0000
	v_mfma_f32_16x16x16_bf16 a[172:175], a[150:151], v[72:73], a[172:175]// 000000006478: D3E180AC 0EB29196
	ds_read_b128 v[48:51], v17 offset:17408                    // 000000006480: D9FE4400 30000011
	v_mfma_f32_16x16x16_bf16 a[176:179], a[152:153], v[72:73], a[176:179]// 000000006488: D3E180B0 0EC29198
	v_mfma_f32_16x16x16_bf16 a[180:183], a[154:155], v[72:73], a[180:183]// 000000006490: D3E180B4 0ED2919A
	ds_read_b128 v[52:55], v17 offset:18560                    // 000000006498: D9FE4880 34000011
	v_mfma_f32_16x16x16_bf16 a[184:187], a[156:157], v[72:73], a[184:187]// 0000000064A0: D3E180B8 0EE2919C
	buffer_atomic_add_f32 v137, v8, s[32:35], 0 idxen          // 0000000064A8: E1342000 80088908
	v_mfma_f32_16x16x16_bf16 a[188:191], a[158:159], v[72:73], a[188:191]// 0000000064B0: D3E180BC 0EF2919E
	ds_read_b128 v[56:59], v17 offset:19712                    // 0000000064B8: D9FE4D00 38000011
	v_mfma_f32_16x16x16_bf16 a[192:195], a[144:145], v[74:75], a[192:195]// 0000000064C0: D3E180C0 0F029590
	v_mfma_f32_16x16x16_bf16 a[196:199], a[146:147], v[74:75], a[196:199]// 0000000064C8: D3E180C4 0F129592
	ds_read_b128 v[60:63], v17 offset:20864                    // 0000000064D0: D9FE5180 3C000011
	v_mfma_f32_16x16x16_bf16 a[200:203], a[148:149], v[74:75], a[200:203]// 0000000064D8: D3E180C8 0F229594
	v_mfma_f32_16x16x16_bf16 a[204:207], a[150:151], v[74:75], a[204:207]// 0000000064E0: D3E180CC 0F329596
	ds_read_b128 v[64:67], v17 offset:22016                    // 0000000064E8: D9FE5600 40000011
	v_mfma_f32_16x16x16_bf16 a[208:211], a[152:153], v[74:75], a[208:211]// 0000000064F0: D3E180D0 0F429598
	buffer_atomic_add_f32 v138, v7, s[32:35], 0 idxen offset:128// 0000000064F8: E1342080 80088A07
	v_mfma_f32_16x16x16_bf16 a[212:215], a[154:155], v[74:75], a[212:215]// 000000006500: D3E180D4 0F52959A
	ds_read_b128 v[68:71], v17 offset:23168                    // 000000006508: D9FE5A80 44000011
	v_mfma_f32_16x16x16_bf16 a[216:219], a[156:157], v[74:75], a[216:219]// 000000006510: D3E180D8 0F62959C
	v_mfma_f32_16x16x16_bf16 a[220:223], a[158:159], v[74:75], a[220:223]// 000000006518: D3E180DC 0F72959E
	ds_write_b32 v13, v88 offset:13056                         // 000000006520: D81A3300 0000580D
	v_mfma_f32_16x16x16_bf16 a[224:227], a[144:145], v[76:77], a[224:227]// 000000006528: D3E180E0 0F829990
	v_mfma_f32_16x16x16_bf16 a[228:231], a[146:147], v[76:77], a[228:231]// 000000006530: D3E180E4 0F929992
	ds_write_b32 v13, v89 offset:14112                         // 000000006538: D81A3720 0000590D
	v_mfma_f32_16x16x16_bf16 a[232:235], a[148:149], v[76:77], a[232:235]// 000000006540: D3E180E8 0FA29994
	buffer_atomic_add_f32 v139, v8, s[32:35], 0 idxen offset:128// 000000006548: E1342080 80088B08
	v_mfma_f32_16x16x16_bf16 a[236:239], a[150:151], v[76:77], a[236:239]// 000000006550: D3E180EC 0FB29996
	ds_write_b32 v13, v90 offset:13184                         // 000000006558: D81A3380 00005A0D
	v_mfma_f32_16x16x16_bf16 a[240:243], a[152:153], v[76:77], a[240:243]// 000000006560: D3E180F0 0FC29998
	v_mfma_f32_16x16x16_bf16 a[244:247], a[154:155], v[76:77], a[244:247]// 000000006568: D3E180F4 0FD2999A
	ds_write_b32 v13, v91 offset:14240                         // 000000006570: D81A37A0 00005B0D
	v_mfma_f32_16x16x16_bf16 a[248:251], a[156:157], v[76:77], a[248:251]// 000000006578: D3E180F8 0FE2999C
	v_mfma_f32_16x16x16_bf16 a[252:255], a[158:159], v[76:77], a[252:255]// 000000006580: D3E180FC 0FF2999E
	s_waitcnt vmcnt(8) lgkmcnt(4)                              // 000000006588: BF8C0478
	s_barrier                                                  // 00000000658C: BF8A0000
	v_mfma_f32_16x16x16_bf16 v[128:131], v[48:49], a[48:49], 0 // 000000006590: D3E10080 12026130
	v_mul_f32_e32 v124, s49, v124                              // 000000006598: 0AF8F831
	s_nop 0                                                    // 00000000659C: BF800000
	v_mfma_f32_16x16x16_bf16 v[128:131], v[50:51], a[52:53], v[128:131]// 0000000065A0: D3E10080 16026932
	ds_read_b128 a[144:147], v10                               // 0000000065A8: DBFE0000 9000000A
	buffer_load_dword v36, v1, s[8:11], 0 idxen                // 0000000065B0: E0502000 80022401
	v_mfma_f32_16x16x16_bf16 v[128:131], v[52:53], a[56:57], v[128:131]// 0000000065B8: D3E10080 16027134
	v_mfma_f32_16x16x16_bf16 v[128:131], v[54:55], a[60:61], v[128:131]// 0000000065C0: D3E10080 16027936
	ds_read_b128 a[148:151], v10 offset:512                    // 0000000065C8: DBFE0200 9400000A
	buffer_load_dword v37, v2, s[8:11], 0 idxen                // 0000000065D0: E0502000 80022502
	v_mfma_f32_16x16x16_bf16 v[128:131], v[56:57], a[64:65], v[128:131]// 0000000065D8: D3E10080 16028138
	v_perm_b32 v84, v33, v32, s63                              // 0000000065E0: D1ED0054 00FE4121
	v_perm_b32 v85, v33, v32, s64                              // 0000000065E8: D1ED0055 01024121
	v_mfma_f32_16x16x16_bf16 v[128:131], v[58:59], a[68:69], v[128:131]// 0000000065F0: D3E10080 1602893A
	ds_read_b128 a[152:155], v10 offset:2176                   // 0000000065F8: DBFE0880 9800000A
	buffer_load_dword v38, v3, s[8:11], 0 idxen                // 000000006600: E0502000 80022603
	v_mfma_f32_16x16x16_bf16 v[128:131], v[60:61], a[72:73], v[128:131]// 000000006608: D3E10080 1602913C
	v_perm_b32 v86, v35, v34, s63                              // 000000006610: D1ED0056 00FE4523
	v_perm_b32 v87, v35, v34, s64                              // 000000006618: D1ED0057 01024523
	v_mfma_f32_16x16x16_bf16 v[128:131], v[62:63], a[76:77], v[128:131]// 000000006620: D3E10080 1602993E
	ds_read_b128 a[156:159], v10 offset:2688                   // 000000006628: DBFE0A80 9C00000A
	buffer_load_dword v39, v4, s[8:11], 0 idxen                // 000000006630: E0502000 80022704
	v_mfma_f32_16x16x16_bf16 v[128:131], v[64:65], a[80:81], v[128:131]// 000000006638: D3E10080 1602A140
	v_perm_b32 v88, v41, v40, s63                              // 000000006640: D1ED0058 00FE5129
	v_perm_b32 v89, v41, v40, s64                              // 000000006648: D1ED0059 01025129
	v_mfma_f32_16x16x16_bf16 v[128:131], v[66:67], a[84:85], v[128:131]// 000000006650: D3E10080 1602A942
	ds_read_b128 v[92:95], v10 offset:8704                     // 000000006658: D9FE2200 5C00000A
	buffer_load_dword v44, v1, s[20:23], 0 idxen               // 000000006660: E0502000 80052C01
	v_mfma_f32_16x16x16_bf16 v[128:131], v[68:69], a[88:89], v[128:131]// 000000006668: D3E10080 1602B144
	v_perm_b32 v90, v43, v42, s63                              // 000000006670: D1ED005A 00FE552B
	v_perm_b32 v91, v43, v42, s64                              // 000000006678: D1ED005B 0102552B
	v_mfma_f32_16x16x16_bf16 v[128:131], v[70:71], a[92:93], v[128:131]// 000000006680: D3E10080 1602B946
	ds_read_b128 v[96:99], v10 offset:9216                     // 000000006688: D9FE2400 6000000A
	buffer_load_dword v45, v2, s[20:23], 0 idxen               // 000000006690: E0502000 80052D02
	v_mfma_f32_16x16x16_bf16 v[132:135], v[48:49], a[50:51], 0 // 000000006698: D3E10084 12026530
	v_mov_b32_dpp v127, v124 quad_perm:[3,3,3,3] row_mask:0xf bank_mask:0xf// 0000000066A0: 7EFE02FA FF00FF7C
	v_mov_b32_dpp v126, v124 quad_perm:[2,2,2,2] row_mask:0xf bank_mask:0xf// 0000000066A8: 7EFC02FA FF00AA7C
	v_mfma_f32_16x16x16_bf16 v[132:135], v[50:51], a[54:55], v[132:135]// 0000000066B0: D3E10084 16126D32
	ds_read_b128 v[100:103], v10 offset:10880                  // 0000000066B8: D9FE2A80 6400000A
	buffer_load_dword v46, v3, s[20:23], 0 idxen               // 0000000066C0: E0502000 80052E03
	v_mfma_f32_16x16x16_bf16 v[132:135], v[52:53], a[58:59], v[132:135]// 0000000066C8: D3E10084 16127534
	v_mov_b32_dpp v125, v124 quad_perm:[1,1,1,1] row_mask:0xf bank_mask:0xf// 0000000066D0: 7EFA02FA FF00557C
	v_mov_b32_dpp v124, v124 quad_perm:[0,0,0,0] row_mask:0xf bank_mask:0xf// 0000000066D8: 7EF802FA FF00007C
	s_add_u32 s60, 64, s59                                     // 0000000066E0: 803C3BC0
	v_mfma_f32_16x16x16_bf16 v[132:135], v[54:55], a[62:63], v[132:135]// 0000000066E4: D3E10084 16127D36
	ds_read_b128 v[104:107], v10 offset:11392                  // 0000000066EC: D9FE2C80 6800000A
	buffer_load_dword v47, v4, s[20:23], 0 idxen               // 0000000066F4: E0502000 80052F04
	v_mfma_f32_16x16x16_bf16 v[132:135], v[56:57], a[66:67], v[132:135]// 0000000066FC: D3E10084 16128538
	s_cmp_lt_u32 s60, s58                                      // 000000006704: BF0A3A3C
	s_cselect_b32 s68, s68, 0                                  // 000000006708: 85448044
	s_cselect_b32 s69, s69, 0                                  // 00000000670C: 85458045
	v_mfma_f32_16x16x16_bf16 v[132:135], v[58:59], a[70:71], v[132:135]// 000000006710: D3E10084 16128D3A
	buffer_load_dword v9, s[24:27], 0 idxen lds                // 000000006718: E0512000 80060009
	v_mfma_f32_16x16x16_bf16 v[132:135], v[60:61], a[74:75], v[132:135]// 000000006720: D3E10084 1612953C
	s_add_u32 s8, s68, s8                                      // 000000006728: 80080844
	s_addc_u32 s9, 0, s9                                       // 00000000672C: 82090980
	v_mfma_f32_16x16x16_bf16 v[132:135], v[62:63], a[78:79], v[132:135]// 000000006730: D3E10084 16129D3E
	s_add_u32 s20, s68, s20                                    // 000000006738: 80141444
	s_addc_u32 s21, 0, s21                                     // 00000000673C: 82151580
	v_mfma_f32_16x16x16_bf16 v[132:135], v[64:65], a[82:83], v[132:135]// 000000006740: D3E10084 1612A540
	s_mov_b32 m0, s76                                          // 000000006748: BEFC004C
	v_add_u32_e32 v9, s69, v9                                  // 00000000674C: 68121245
	v_mfma_f32_16x16x16_bf16 v[132:135], v[66:67], a[86:87], v[132:135]// 000000006750: D3E10084 1612AD42
	s_cmp_ge_u32 s59, 16                                       // 000000006758: BF09903B
	s_cselect_b32 s66, s67, s66                                // 00000000675C: 85424243
	v_mfma_f32_16x16x16_bf16 v[132:135], v[68:69], a[90:91], v[132:135]// 000000006760: D3E10084 1612B544
	s_addk_i32 s59, 0x10                                       // 000000006768: B73B0010
	s_nop 0                                                    // 00000000676C: BF800000
	s_cmp_lt_i32 s59, s58                                      // 000000006770: BF043A3B
	v_mfma_f32_16x16x16_bf16 v[132:135], v[70:71], a[94:95], v[132:135]// 000000006774: D3E10084 1612BD46
	s_cbranch_scc0 label_0D3A                                  // 00000000677C: BF8402DA
	s_waitcnt lgkmcnt(4)                                       // 000000006780: BF8CC47F
	s_barrier                                                  // 000000006784: BF8A0000
	v_mfma_f32_16x16x16_bf16 v[48:51], a[144:145], a[0:1], 0   // 000000006788: D3E10030 1A020190
	ds_write_b32 v11, v40 offset:8704                          // 000000006790: D81A2200 0000280B
	ds_write_b32 v11, v41 offset:9760                          // 000000006798: D81A2620 0000290B
	v_mfma_f32_16x16x16_bf16 v[48:51], a[146:147], a[2:3], v[48:51]// 0000000067A0: D3E10030 1CC20592
	v_mul_f32_e32 v128, s48, v128                              // 0000000067A8: 0B010030
	v_mul_f32_e32 v129, s48, v129                              // 0000000067AC: 0B030230
	v_mfma_f32_16x16x16_bf16 v[48:51], a[148:149], a[4:5], v[48:51]// 0000000067B0: D3E10030 1CC20994
	ds_write_b32 v11, v42 offset:8832                          // 0000000067B8: D81A2280 00002A0B
	ds_write_b32 v11, v43 offset:9888                          // 0000000067C0: D81A26A0 00002B0B
	v_mfma_f32_16x16x16_bf16 v[48:51], a[150:151], a[6:7], v[48:51]// 0000000067C8: D3E10030 1CC20D96
	v_mul_f32_e32 v130, s48, v130                              // 0000000067D0: 0B050430
	v_mul_f32_e32 v131, s48, v131                              // 0000000067D4: 0B070630
	v_mfma_f32_16x16x16_bf16 v[48:51], a[152:153], a[8:9], v[48:51]// 0000000067D8: D3E10030 1CC21198
	ds_write_b64 v20, v[128:129] offset:24320                  // 0000000067E0: D89A5F00 00008014
	v_mfma_f32_16x16x16_bf16 v[48:51], a[154:155], a[10:11], v[48:51]// 0000000067E8: D3E10030 1CC2159A
	v_mul_f32_e32 v132, s48, v132                              // 0000000067F0: 0B090830
	v_mul_f32_e32 v133, s48, v133                              // 0000000067F4: 0B0B0A30
	v_mfma_f32_16x16x16_bf16 v[48:51], a[156:157], a[12:13], v[48:51]// 0000000067F8: D3E10030 1CC2199C
	ds_write_b64 v20, v[130:131] offset:24832                  // 000000006800: D89A6100 00008214
	v_mfma_f32_16x16x16_bf16 v[48:51], a[158:159], a[14:15], v[48:51]// 000000006808: D3E10030 1CC21D9E
	v_mul_f32_e32 v134, s48, v134                              // 000000006810: 0B0D0C30
	v_mul_f32_e32 v135, s48, v135                              // 000000006814: 0B0F0E30
	v_mfma_f32_16x16x16_bf16 v[52:55], a[144:145], a[16:17], 0 // 000000006818: D3E10034 1A022190
	ds_write_b64 v20, v[132:133] offset:25344                  // 000000006820: D89A6300 00008414
	v_mfma_f32_16x16x16_bf16 v[52:55], a[146:147], a[18:19], v[52:55]// 000000006828: D3E10034 1CD22592
	buffer_atomic_add_f32 v140, v7, s[32:35], 0 idxen offset:256// 000000006830: E1342100 80088C07
	v_mfma_f32_16x16x16_bf16 v[52:55], a[148:149], a[20:21], v[52:55]// 000000006838: D3E10034 1CD22994
	ds_write_b64 v20, v[134:135] offset:25856                  // 000000006840: D89A6500 00008614
	v_mfma_f32_16x16x16_bf16 v[52:55], a[150:151], a[22:23], v[52:55]// 000000006848: D3E10034 1CD22D96
	v_mfma_f32_16x16x16_bf16 v[52:55], a[152:153], a[24:25], v[52:55]// 000000006850: D3E10034 1CD23198
	ds_read_b128 v[108:111], v12 offset:13056                  // 000000006858: D9FE3300 6C00000C
	ds_write_b32 v11, v32                                      // 000000006860: D81A0000 0000200B
	v_mfma_f32_16x16x16_bf16 v[52:55], a[154:155], a[26:27], v[52:55]// 000000006868: D3E10034 1CD2359A
	buffer_atomic_add_f32 v141, v8, s[32:35], 0 idxen offset:256// 000000006870: E1342100 80088D08
	v_mfma_f32_16x16x16_bf16 v[52:55], a[156:157], a[28:29], v[52:55]// 000000006878: D3E10034 1CD2399C
	v_mfma_f32_16x16x16_bf16 v[52:55], a[158:159], a[30:31], v[52:55]// 000000006880: D3E10034 1CD23D9E
	ds_read_b128 v[112:115], v12 offset:13568                  // 000000006888: D9FE3500 7000000C
	ds_write_b32 v11, v33 offset:1056                          // 000000006890: D81A0420 0000210B
	v_mfma_f32_16x16x16_bf16 v[56:59], a[144:145], a[32:33], 0 // 000000006898: D3E10038 1A024190
	buffer_atomic_add_f32 v142, v7, s[32:35], 0 idxen offset:384// 0000000068A0: E1342180 80088E07
	v_mfma_f32_16x16x16_bf16 v[56:59], a[146:147], a[34:35], v[56:59]// 0000000068A8: D3E10038 1CE24592
	v_mfma_f32_16x16x16_bf16 v[56:59], a[148:149], a[36:37], v[56:59]// 0000000068B0: D3E10038 1CE24994
	ds_read_b128 v[116:119], v12 offset:15232                  // 0000000068B8: D9FE3B80 7400000C
	ds_write_b32 v11, v34 offset:128                           // 0000000068C0: D81A0080 0000220B
	v_mfma_f32_16x16x16_bf16 v[56:59], a[150:151], a[38:39], v[56:59]// 0000000068C8: D3E10038 1CE24D96
	v_mfma_f32_16x16x16_bf16 v[56:59], a[152:153], a[40:41], v[56:59]// 0000000068D0: D3E10038 1CE25198
	buffer_atomic_add_f32 v143, v8, s[32:35], 0 idxen offset:384// 0000000068D8: E1342180 80088F08
	v_mfma_f32_16x16x16_bf16 v[56:59], a[154:155], a[42:43], v[56:59]// 0000000068E0: D3E10038 1CE2559A
	ds_read_b128 v[120:123], v12 offset:15744                  // 0000000068E8: D9FE3D80 7800000C
	ds_write_b32 v11, v35 offset:1184                          // 0000000068F0: D81A04A0 0000230B
	v_mfma_f32_16x16x16_bf16 v[56:59], a[156:157], a[44:45], v[56:59]// 0000000068F8: D3E10038 1CE2599C
	v_mfma_f32_16x16x16_bf16 v[56:59], a[158:159], a[46:47], v[56:59]// 000000006900: D3E10038 1CE25D9E
	s_cmp_lt_i32 s73, 3                                        // 000000006908: BF048349
	s_cbranch_scc0 label_0AD3                                  // 00000000690C: BF84000F
	s_cmp_eq_i32 s73, 1                                        // 000000006910: BF008149
	s_cbranch_scc1 label_0AC9                                  // 000000006914: BF850003
	s_cmp_eq_i32 s73, 2                                        // 000000006918: BF008249
	s_cbranch_scc1 label_0ACE                                  // 00000000691C: BF850006
	s_branch label_0AD3                                        // 000000006920: BF82000A

0000000000006924 <label_0AC9>:
	v_mov_b32_e32 v52, v151                                    // 000000006924: 7E680397
	v_mov_b32_e32 v53, v151                                    // 000000006928: 7E6A0397
	v_mov_b32_e32 v54, v151                                    // 00000000692C: 7E6C0397
	v_mov_b32_e32 v55, v151                                    // 000000006930: 7E6E0397
	s_branch label_0ACE                                        // 000000006934: BF820000

0000000000006938 <label_0ACE>:
	v_mov_b32_e32 v56, v151                                    // 000000006938: 7E700397
	v_mov_b32_e32 v57, v151                                    // 00000000693C: 7E720397
	v_mov_b32_e32 v58, v151                                    // 000000006940: 7E740397
	v_mov_b32_e32 v59, v151                                    // 000000006944: 7E760397
	s_branch label_0AD3                                        // 000000006948: BF820000

000000000000694c <label_0AD3>:
	s_waitcnt lgkmcnt(8)                                       // 00000000694C: BF8CC87F
	s_barrier                                                  // 000000006950: BF8A0000
	v_mfma_f32_16x16x16_bf16 v[72:75], v[92:93], a[96:97], 0   // 000000006954: D3E10048 1202C15C
	ds_read_b128 a[144:147], v12 offset:4352                   // 00000000695C: DBFE1100 9000000C
	ds_read_b128 a[148:151], v12 offset:4864                   // 000000006964: DBFE1300 9400000C
	v_mfma_f32_16x16x16_bf16 v[72:75], v[94:95], a[98:99], v[72:75]// 00000000696C: D3E10048 1522C55E
	v_fma_f32 v48, v48, s57, -v124                             // 000000006974: D1CB0030 85F07330
	v_fma_f32 v49, v49, s57, -v125                             // 00000000697C: D1CB0031 85F47331
	v_fma_f32 v50, v50, s57, -v126                             // 000000006984: D1CB0032 85F87332
	v_mfma_f32_16x16x16_bf16 v[72:75], v[96:97], a[100:101], v[72:75]// 00000000698C: D3E10048 1522C960
	v_fma_f32 v51, v51, s57, -v127                             // 000000006994: D1CB0033 85FC7333
	v_fma_f32 v52, v52, s57, -v124                             // 00000000699C: D1CB0034 85F07334
	v_fma_f32 v53, v53, s57, -v125                             // 0000000069A4: D1CB0035 85F47335
	v_mfma_f32_16x16x16_bf16 v[72:75], v[98:99], a[102:103], v[72:75]// 0000000069AC: D3E10048 1522CD62
	v_fma_f32 v54, v54, s57, -v126                             // 0000000069B4: D1CB0036 85F87336
	v_fma_f32 v55, v55, s57, -v127                             // 0000000069BC: D1CB0037 85FC7337
	v_fma_f32 v56, v56, s57, -v124                             // 0000000069C4: D1CB0038 85F07338
	v_mfma_f32_16x16x16_bf16 v[72:75], v[100:101], a[104:105], v[72:75]// 0000000069CC: D3E10048 1522D164
	ds_read_b128 a[152:155], v12 offset:6528                   // 0000000069D4: DBFE1980 9800000C
	ds_read_b128 a[156:159], v12 offset:7040                   // 0000000069DC: DBFE1B80 9C00000C
	v_mfma_f32_16x16x16_bf16 v[72:75], v[102:103], a[106:107], v[72:75]// 0000000069E4: D3E10048 1522D566
	v_fma_f32 v57, v57, s57, -v125                             // 0000000069EC: D1CB0039 85F47339
	v_fma_f32 v58, v58, s57, -v126                             // 0000000069F4: D1CB003A 85F8733A
	v_fma_f32 v59, v59, s57, -v127                             // 0000000069FC: D1CB003B 85FC733B
	v_mfma_f32_16x16x16_bf16 v[72:75], v[104:105], a[108:109], v[72:75]// 000000006A04: D3E10048 1522D968
	v_exp_f32_e32 v48, v48                                     // 000000006A0C: 7E604130
	v_mfma_f32_16x16x16_bf16 v[72:75], v[106:107], a[110:111], v[72:75]// 000000006A10: D3E10048 1522DD6A
	v_exp_f32_e32 v49, v49                                     // 000000006A18: 7E624131
	v_mfma_f32_16x16x16_bf16 v[76:79], v[92:93], a[112:113], 0 // 000000006A1C: D3E1004C 1202E15C
	ds_read_b64 v[136:137], v19 offset:24320                   // 000000006A24: D8EC5F00 88000013
	ds_read_b64 v[138:139], v19 offset:26368                   // 000000006A2C: D8EC6700 8A000013
	v_mfma_f32_16x16x16_bf16 v[76:79], v[94:95], a[114:115], v[76:79]// 000000006A34: D3E1004C 1532E55E
	v_exp_f32_e32 v50, v50                                     // 000000006A3C: 7E644132
	v_mfma_f32_16x16x16_bf16 v[76:79], v[96:97], a[116:117], v[76:79]// 000000006A40: D3E1004C 1532E960
	ds_read_b64 v[140:141], v19 offset:28416                   // 000000006A48: D8EC6F00 8C000013
	ds_read_b64 v[142:143], v19 offset:30464                   // 000000006A50: D8EC7700 8E000013
	v_mfma_f32_16x16x16_bf16 v[76:79], v[98:99], a[118:119], v[76:79]// 000000006A58: D3E1004C 1532ED62
	v_exp_f32_e32 v51, v51                                     // 000000006A60: 7E664133
	v_mfma_f32_16x16x16_bf16 v[76:79], v[100:101], a[120:121], v[76:79]// 000000006A64: D3E1004C 1532F164
	v_exp_f32_e32 v52, v52                                     // 000000006A6C: 7E684134
	v_mfma_f32_16x16x16_bf16 v[76:79], v[102:103], a[122:123], v[76:79]// 000000006A70: D3E1004C 1532F566
	v_exp_f32_e32 v53, v53                                     // 000000006A78: 7E6A4135
	v_mfma_f32_16x16x16_bf16 v[76:79], v[104:105], a[124:125], v[76:79]// 000000006A7C: D3E1004C 1532F968
	v_exp_f32_e32 v54, v54                                     // 000000006A84: 7E6C4136
	v_mfma_f32_16x16x16_bf16 v[76:79], v[106:107], a[126:127], v[76:79]// 000000006A88: D3E1004C 1532FD6A
	v_exp_f32_e32 v55, v55                                     // 000000006A90: 7E6E4137
	v_mfma_f32_16x16x16_bf16 v[80:83], v[92:93], a[128:129], 0 // 000000006A94: D3E10050 1203015C
	v_exp_f32_e32 v56, v56                                     // 000000006A9C: 7E704138
	v_mfma_f32_16x16x16_bf16 v[80:83], v[94:95], a[130:131], v[80:83]// 000000006AA0: D3E10050 1543055E
	v_exp_f32_e32 v57, v57                                     // 000000006AA8: 7E724139
	v_mfma_f32_16x16x16_bf16 v[80:83], v[96:97], a[132:133], v[80:83]// 000000006AAC: D3E10050 15430960
	v_exp_f32_e32 v58, v58                                     // 000000006AB4: 7E74413A
	v_mfma_f32_16x16x16_bf16 v[80:83], v[98:99], a[134:135], v[80:83]// 000000006AB8: D3E10050 15430D62
	v_exp_f32_e32 v59, v59                                     // 000000006AC0: 7E76413B
	v_mfma_f32_16x16x16_bf16 v[80:83], v[100:101], a[136:137], v[80:83]// 000000006AC4: D3E10050 15431164
	v_cmp_u_f32_e64 s[74:75], v48, v48                         // 000000006ACC: D048004A 00026130
	v_add3_u32 v248, v48, v251, 1                              // 000000006AD4: D1FF00F8 0207F730
	v_cndmask_b32_e64 v28, v248, v250, s[74:75]                // 000000006ADC: D100001C 012BF5F8
	v_cmp_u_f32_e64 s[74:75], v49, v49                         // 000000006AE4: D048004A 00026331
	v_add3_u32 v248, v49, v251, 1                              // 000000006AEC: D1FF00F8 0207F731
	v_cndmask_b32_e64 v29, v248, v250, s[74:75]                // 000000006AF4: D100001D 012BF5F8
	v_perm_b32 v144, v29, v28, s64                             // 000000006AFC: D1ED0090 0102391D
	v_cmp_u_f32_e64 s[74:75], v50, v50                         // 000000006B04: D048004A 00026532
	v_add3_u32 v248, v50, v251, 1                              // 000000006B0C: D1FF00F8 0207F732
	v_cndmask_b32_e64 v28, v248, v250, s[74:75]                // 000000006B14: D100001C 012BF5F8
	v_cmp_u_f32_e64 s[74:75], v51, v51                         // 000000006B1C: D048004A 00026733
	v_add3_u32 v248, v51, v251, 1                              // 000000006B24: D1FF00F8 0207F733
	v_cndmask_b32_e64 v29, v248, v250, s[74:75]                // 000000006B2C: D100001D 012BF5F8
	v_perm_b32 v145, v29, v28, s64                             // 000000006B34: D1ED0091 0102391D
	v_cmp_u_f32_e64 s[74:75], v52, v52                         // 000000006B3C: D048004A 00026934
	v_add3_u32 v248, v52, v251, 1                              // 000000006B44: D1FF00F8 0207F734
	v_cndmask_b32_e64 v28, v248, v250, s[74:75]                // 000000006B4C: D100001C 012BF5F8
	v_cmp_u_f32_e64 s[74:75], v53, v53                         // 000000006B54: D048004A 00026B35
	v_add3_u32 v248, v53, v251, 1                              // 000000006B5C: D1FF00F8 0207F735
	v_cndmask_b32_e64 v29, v248, v250, s[74:75]                // 000000006B64: D100001D 012BF5F8
	v_perm_b32 v146, v29, v28, s64                             // 000000006B6C: D1ED0092 0102391D
	v_mfma_f32_16x16x16_bf16 v[80:83], v[102:103], a[138:139], v[80:83]// 000000006B74: D3E10050 15431566
	v_cmp_u_f32_e64 s[74:75], v54, v54                         // 000000006B7C: D048004A 00026D36
	v_add3_u32 v248, v54, v251, 1                              // 000000006B84: D1FF00F8 0207F736
	v_cndmask_b32_e64 v28, v248, v250, s[74:75]                // 000000006B8C: D100001C 012BF5F8
	v_cmp_u_f32_e64 s[74:75], v55, v55                         // 000000006B94: D048004A 00026F37
	v_add3_u32 v248, v55, v251, 1                              // 000000006B9C: D1FF00F8 0207F737
	v_cndmask_b32_e64 v29, v248, v250, s[74:75]                // 000000006BA4: D100001D 012BF5F8
	v_perm_b32 v147, v29, v28, s64                             // 000000006BAC: D1ED0093 0102391D
	v_cmp_u_f32_e64 s[74:75], v56, v56                         // 000000006BB4: D048004A 00027138
	v_add3_u32 v248, v56, v251, 1                              // 000000006BBC: D1FF00F8 0207F738
	v_cndmask_b32_e64 v28, v248, v250, s[74:75]                // 000000006BC4: D100001C 012BF5F8
	v_cmp_u_f32_e64 s[74:75], v57, v57                         // 000000006BCC: D048004A 00027339
	v_add3_u32 v248, v57, v251, 1                              // 000000006BD4: D1FF00F8 0207F739
	v_cndmask_b32_e64 v29, v248, v250, s[74:75]                // 000000006BDC: D100001D 012BF5F8
	v_perm_b32 v148, v29, v28, s64                             // 000000006BE4: D1ED0094 0102391D
	v_cmp_u_f32_e64 s[74:75], v58, v58                         // 000000006BEC: D048004A 0002753A
	v_add3_u32 v248, v58, v251, 1                              // 000000006BF4: D1FF00F8 0207F73A
	v_cndmask_b32_e64 v28, v248, v250, s[74:75]                // 000000006BFC: D100001C 012BF5F8
	v_cmp_u_f32_e64 s[74:75], v59, v59                         // 000000006C04: D048004A 0002773B
	v_add3_u32 v248, v59, v251, 1                              // 000000006C0C: D1FF00F8 0207F73B
	v_cndmask_b32_e64 v29, v248, v250, s[74:75]                // 000000006C14: D100001D 012BF5F8
	v_perm_b32 v149, v29, v28, s64                             // 000000006C1C: D1ED0095 0102391D
	v_mfma_f32_16x16x16_bf16 v[80:83], v[104:105], a[140:141], v[80:83]// 000000006C24: D3E10050 15431968
	s_add_u32 s32, s66, s32                                    // 000000006C2C: 80202042
	s_addc_u32 s33, 0, s33                                     // 000000006C30: 82212180
	v_mfma_f32_16x16x16_bf16 v[80:83], v[106:107], a[142:143], v[80:83]// 000000006C34: D3E10050 15431D6A
	s_waitcnt lgkmcnt(0)                                       // 000000006C3C: BF8CC07F
	s_barrier                                                  // 000000006C40: BF8A0000
	v_mfma_f32_16x16x16_bf16 v[152:155], v[108:109], v[144:145], v[152:155]// 000000006C44: D3E10098 0663216C
	v_subrev_f32_dpp v72, v150, v72 quad_perm:[0,0,0,0] row_mask:0xf bank_mask:0xf// 000000006C4C: 069090FA FF000096
	v_subrev_f32_dpp v73, v150, v73 quad_perm:[1,1,1,1] row_mask:0xf bank_mask:0xf// 000000006C54: 069292FA FF005596
	v_subrev_f32_dpp v74, v150, v74 quad_perm:[2,2,2,2] row_mask:0xf bank_mask:0xf// 000000006C5C: 069494FA FF00AA96
	v_mfma_f32_16x16x16_bf16 v[156:159], v[110:111], v[144:145], v[156:159]// 000000006C64: D3E1009C 0673216E
	v_subrev_f32_dpp v75, v150, v75 quad_perm:[3,3,3,3] row_mask:0xf bank_mask:0xf// 000000006C6C: 069696FA FF00FF96
	v_subrev_f32_dpp v76, v150, v76 quad_perm:[0,0,0,0] row_mask:0xf bank_mask:0xf// 000000006C74: 069898FA FF000096
	v_subrev_f32_dpp v77, v150, v77 quad_perm:[1,1,1,1] row_mask:0xf bank_mask:0xf// 000000006C7C: 069A9AFA FF005596
	v_mfma_f32_16x16x16_bf16 v[160:163], v[112:113], v[144:145], v[160:163]// 000000006C84: D3E100A0 06832170
	v_mul_f32_e32 v72, v48, v72                                // 000000006C8C: 0A909130
	v_mul_f32_e32 v73, v49, v73                                // 000000006C90: 0A929331
	v_mul_f32_e32 v74, v50, v74                                // 000000006C94: 0A949532
	v_mfma_f32_16x16x16_bf16 v[164:167], v[114:115], v[144:145], v[164:167]// 000000006C98: D3E100A4 06932172
	v_mul_f32_e32 v75, v51, v75                                // 000000006CA0: 0A969733
	v_mul_f32_e32 v76, v52, v76                                // 000000006CA4: 0A989934
	v_mul_f32_e32 v77, v53, v77                                // 000000006CA8: 0A9A9B35
	v_mfma_f32_16x16x16_bf16 v[168:171], v[116:117], v[144:145], v[168:171]// 000000006CAC: D3E100A8 06A32174
	v_cmp_u_f32_e64 s[74:75], v72, v72                         // 000000006CB4: D048004A 00029148
	v_add3_u32 v248, v72, v251, 1                              // 000000006CBC: D1FF00F8 0207F748
	v_cndmask_b32_e64 v28, v248, v250, s[74:75]                // 000000006CC4: D100001C 012BF5F8
	v_cmp_u_f32_e64 s[74:75], v73, v73                         // 000000006CCC: D048004A 00029349
	v_add3_u32 v248, v73, v251, 1                              // 000000006CD4: D1FF00F8 0207F749
	v_cndmask_b32_e64 v29, v248, v250, s[74:75]                // 000000006CDC: D100001D 012BF5F8
	v_perm_b32 v72, v29, v28, s64                              // 000000006CE4: D1ED0048 0102391D
	v_cmp_u_f32_e64 s[74:75], v74, v74                         // 000000006CEC: D048004A 0002954A
	v_add3_u32 v248, v74, v251, 1                              // 000000006CF4: D1FF00F8 0207F74A
	v_cndmask_b32_e64 v28, v248, v250, s[74:75]                // 000000006CFC: D100001C 012BF5F8
	v_cmp_u_f32_e64 s[74:75], v75, v75                         // 000000006D04: D048004A 0002974B
	v_add3_u32 v248, v75, v251, 1                              // 000000006D0C: D1FF00F8 0207F74B
	v_cndmask_b32_e64 v29, v248, v250, s[74:75]                // 000000006D14: D100001D 012BF5F8
	v_perm_b32 v73, v29, v28, s64                              // 000000006D1C: D1ED0049 0102391D
	v_cmp_u_f32_e64 s[74:75], v76, v76                         // 000000006D24: D048004A 0002994C
	v_add3_u32 v248, v76, v251, 1                              // 000000006D2C: D1FF00F8 0207F74C
	v_cndmask_b32_e64 v28, v248, v250, s[74:75]                // 000000006D34: D100001C 012BF5F8
	v_cmp_u_f32_e64 s[74:75], v77, v77                         // 000000006D3C: D048004A 00029B4D
	v_add3_u32 v248, v77, v251, 1                              // 000000006D44: D1FF00F8 0207F74D
	v_cndmask_b32_e64 v29, v248, v250, s[74:75]                // 000000006D4C: D100001D 012BF5F8
	v_perm_b32 v74, v29, v28, s64                              // 000000006D54: D1ED004A 0102391D
	v_mfma_f32_16x16x16_bf16 v[172:175], v[118:119], v[144:145], v[172:175]// 000000006D5C: D3E100AC 06B32176
	v_mov_b32_dpp v16, v72 quad_perm:[1,0,3,2] row_mask:0xf bank_mask:0xf// 000000006D64: 7E2002FA FF00B148
	v_perm_b32 v48, v16, v72, v15                              // 000000006D6C: D1ED0030 043E9110
	v_mov_b32_dpp v16, v73 quad_perm:[1,0,3,2] row_mask:0xf bank_mask:0xf// 000000006D74: 7E2002FA FF00B149
	v_mfma_f32_16x16x16_bf16 v[176:179], v[120:121], v[144:145], v[176:179]// 000000006D7C: D3E100B0 06C32178
	v_perm_b32 v49, v16, v73, v15                              // 000000006D84: D1ED0031 043E9310
	v_mov_b32_dpp v16, v74 quad_perm:[1,0,3,2] row_mask:0xf bank_mask:0xf// 000000006D8C: 7E2002FA FF00B14A
	v_perm_b32 v50, v16, v74, v15                              // 000000006D94: D1ED0032 043E9510
	v_mfma_f32_16x16x16_bf16 v[180:183], v[122:123], v[144:145], v[180:183]// 000000006D9C: D3E100B4 06D3217A
	ds_write_b32 v18, v48 offset:17408                         // 000000006DA4: D81A4400 00003012
	v_mfma_f32_16x16x16_bf16 v[184:187], v[108:109], v[146:147], v[184:187]// 000000006DAC: D3E100B8 06E3256C
	v_subrev_f32_dpp v78, v150, v78 quad_perm:[2,2,2,2] row_mask:0xf bank_mask:0xf// 000000006DB4: 069C9CFA FF00AA96
	v_subrev_f32_dpp v79, v150, v79 quad_perm:[3,3,3,3] row_mask:0xf bank_mask:0xf// 000000006DBC: 069E9EFA FF00FF96
	v_subrev_f32_dpp v80, v150, v80 quad_perm:[0,0,0,0] row_mask:0xf bank_mask:0xf// 000000006DC4: 06A0A0FA FF000096
	v_mfma_f32_16x16x16_bf16 v[188:191], v[110:111], v[146:147], v[188:191]// 000000006DCC: D3E100BC 06F3256E
	ds_write_b32 v18, v49 offset:17952                         // 000000006DD4: D81A4620 00003112
	v_mfma_f32_16x16x16_bf16 v[192:195], v[112:113], v[146:147], v[192:195]// 000000006DDC: D3E100C0 07032570
	v_subrev_f32_dpp v81, v150, v81 quad_perm:[1,1,1,1] row_mask:0xf bank_mask:0xf// 000000006DE4: 06A2A2FA FF005596
	v_subrev_f32_dpp v82, v150, v82 quad_perm:[2,2,2,2] row_mask:0xf bank_mask:0xf// 000000006DEC: 06A4A4FA FF00AA96
	v_subrev_f32_dpp v83, v150, v83 quad_perm:[3,3,3,3] row_mask:0xf bank_mask:0xf// 000000006DF4: 06A6A6FA FF00FF96
	v_mfma_f32_16x16x16_bf16 v[196:199], v[114:115], v[146:147], v[196:199]// 000000006DFC: D3E100C4 07132572
	ds_write_b32 v18, v50 offset:19712                         // 000000006E04: D81A4D00 00003212
	v_mfma_f32_16x16x16_bf16 v[200:203], v[116:117], v[146:147], v[200:203]// 000000006E0C: D3E100C8 07232574
	v_mul_f32_e32 v78, v54, v78                                // 000000006E14: 0A9C9D36
	v_mul_f32_e32 v79, v55, v79                                // 000000006E18: 0A9E9F37
	v_mul_f32_e32 v80, v56, v80                                // 000000006E1C: 0AA0A138
	v_mfma_f32_16x16x16_bf16 v[204:207], v[118:119], v[146:147], v[204:207]// 000000006E20: D3E100CC 07332576
	v_mul_f32_e32 v81, v57, v81                                // 000000006E28: 0AA2A339
	v_mul_f32_e32 v82, v58, v82                                // 000000006E2C: 0AA4A53A
	v_mul_f32_e32 v83, v59, v83                                // 000000006E30: 0AA6A73B
	v_mfma_f32_16x16x16_bf16 v[208:211], v[120:121], v[146:147], v[208:211]// 000000006E34: D3E100D0 07432578
	v_cmp_u_f32_e64 s[74:75], v78, v78                         // 000000006E3C: D048004A 00029D4E
	v_add3_u32 v248, v78, v251, 1                              // 000000006E44: D1FF00F8 0207F74E
	v_cndmask_b32_e64 v28, v248, v250, s[74:75]                // 000000006E4C: D100001C 012BF5F8
	v_cmp_u_f32_e64 s[74:75], v79, v79                         // 000000006E54: D048004A 00029F4F
	v_add3_u32 v248, v79, v251, 1                              // 000000006E5C: D1FF00F8 0207F74F
	v_cndmask_b32_e64 v29, v248, v250, s[74:75]                // 000000006E64: D100001D 012BF5F8
	v_perm_b32 v75, v29, v28, s64                              // 000000006E6C: D1ED004B 0102391D
	v_cmp_u_f32_e64 s[74:75], v80, v80                         // 000000006E74: D048004A 0002A150
	v_add3_u32 v248, v80, v251, 1                              // 000000006E7C: D1FF00F8 0207F750
	v_cndmask_b32_e64 v28, v248, v250, s[74:75]                // 000000006E84: D100001C 012BF5F8
	v_cmp_u_f32_e64 s[74:75], v81, v81                         // 000000006E8C: D048004A 0002A351
	v_add3_u32 v248, v81, v251, 1                              // 000000006E94: D1FF00F8 0207F751
	v_cndmask_b32_e64 v29, v248, v250, s[74:75]                // 000000006E9C: D100001D 012BF5F8
	v_perm_b32 v76, v29, v28, s64                              // 000000006EA4: D1ED004C 0102391D
	v_cmp_u_f32_e64 s[74:75], v82, v82                         // 000000006EAC: D048004A 0002A552
	v_add3_u32 v248, v82, v251, 1                              // 000000006EB4: D1FF00F8 0207F752
	v_cndmask_b32_e64 v28, v248, v250, s[74:75]                // 000000006EBC: D100001C 012BF5F8
	v_cmp_u_f32_e64 s[74:75], v83, v83                         // 000000006EC4: D048004A 0002A753
	v_add3_u32 v248, v83, v251, 1                              // 000000006ECC: D1FF00F8 0207F753
	v_cndmask_b32_e64 v29, v248, v250, s[74:75]                // 000000006ED4: D100001D 012BF5F8
	v_perm_b32 v77, v29, v28, s64                              // 000000006EDC: D1ED004D 0102391D
	v_mfma_f32_16x16x16_bf16 v[212:215], v[122:123], v[146:147], v[212:215]// 000000006EE4: D3E100D4 0753257A
	v_mov_b32_dpp v16, v75 quad_perm:[1,0,3,2] row_mask:0xf bank_mask:0xf// 000000006EEC: 7E2002FA FF00B14B
	v_perm_b32 v51, v16, v75, v15                              // 000000006EF4: D1ED0033 043E9710
	v_mov_b32_dpp v16, v76 quad_perm:[1,0,3,2] row_mask:0xf bank_mask:0xf// 000000006EFC: 7E2002FA FF00B14C
	v_mfma_f32_16x16x16_bf16 v[216:219], v[108:109], v[148:149], v[216:219]// 000000006F04: D3E100D8 0763296C
	v_perm_b32 v52, v16, v76, v15                              // 000000006F0C: D1ED0034 043E9910
	v_mov_b32_dpp v16, v77 quad_perm:[1,0,3,2] row_mask:0xf bank_mask:0xf// 000000006F14: 7E2002FA FF00B14D
	v_perm_b32 v53, v16, v77, v15                              // 000000006F1C: D1ED0035 043E9B10
	v_mfma_f32_16x16x16_bf16 v[220:223], v[110:111], v[148:149], v[220:223]// 000000006F24: D3E100DC 0773296E
	ds_write_b32 v18, v51 offset:20256                         // 000000006F2C: D81A4F20 00003312
	v_mfma_f32_16x16x16_bf16 v[224:227], v[112:113], v[148:149], v[224:227]// 000000006F34: D3E100E0 07832970
	v_mfma_f32_16x16x16_bf16 v[228:231], v[114:115], v[148:149], v[228:231]// 000000006F3C: D3E100E4 07932972
	ds_write_b32 v18, v52 offset:22016                         // 000000006F44: D81A5600 00003412
	ds_write_b32 v18, v53 offset:22560                         // 000000006F4C: D81A5820 00003512
	v_mfma_f32_16x16x16_bf16 v[232:235], v[116:117], v[148:149], v[232:235]// 000000006F54: D3E100E8 07A32974
	v_mfma_f32_16x16x16_bf16 v[236:239], v[118:119], v[148:149], v[236:239]// 000000006F5C: D3E100EC 07B32976
	ds_write_b32 v13, v84 offset:4352                          // 000000006F64: D81A1100 0000540D
	ds_write_b32 v13, v85 offset:5408                          // 000000006F6C: D81A1520 0000550D
	v_mfma_f32_16x16x16_bf16 v[240:243], v[120:121], v[148:149], v[240:243]// 000000006F74: D3E100F0 07C32978
	s_nop 0                                                    // 000000006F7C: BF800000
	s_nop 0                                                    // 000000006F80: BF800000
	s_nop 0                                                    // 000000006F84: BF800000
	v_mfma_f32_16x16x16_bf16 v[244:247], v[122:123], v[148:149], v[244:247]// 000000006F88: D3E100F4 07D3297A
	ds_write_b32 v13, v86 offset:4480                          // 000000006F90: D81A1180 0000560D
	ds_write_b32 v13, v87 offset:5536                          // 000000006F98: D81A15A0 0000570D
	s_barrier                                                  // 000000006FA0: BF8A0000
	v_mfma_f32_16x16x16_bf16 a[160:163], a[144:145], v[72:73], a[160:163]// 000000006FA4: D3E180A0 0E829190
	buffer_atomic_add_f32 v136, v7, s[32:35], 0 idxen          // 000000006FAC: E1342000 80088807
	v_mfma_f32_16x16x16_bf16 a[164:167], a[146:147], v[72:73], a[164:167]// 000000006FB4: D3E180A4 0E929192
	ds_read_b32 v124, v21 offset:50688                         // 000000006FBC: D86CC600 7C000015
	ds_read_b32 v150, v21 offset:50944                         // 000000006FC4: D86CC700 96000015
	v_mfma_f32_16x16x16_bf16 a[168:171], a[148:149], v[72:73], a[168:171]// 000000006FCC: D3E180A8 0EA29194
	s_waitcnt lgkmcnt(6)                                       // 000000006FD4: BF8CC67F
	s_barrier                                                  // 000000006FD8: BF8A0000
	v_mfma_f32_16x16x16_bf16 a[172:175], a[150:151], v[72:73], a[172:175]// 000000006FDC: D3E180AC 0EB29196
	ds_read_b128 v[48:51], v17 offset:17408                    // 000000006FE4: D9FE4400 30000011
	v_mfma_f32_16x16x16_bf16 a[176:179], a[152:153], v[72:73], a[176:179]// 000000006FEC: D3E180B0 0EC29198
	v_mfma_f32_16x16x16_bf16 a[180:183], a[154:155], v[72:73], a[180:183]// 000000006FF4: D3E180B4 0ED2919A
	ds_read_b128 v[52:55], v17 offset:18560                    // 000000006FFC: D9FE4880 34000011
	v_mfma_f32_16x16x16_bf16 a[184:187], a[156:157], v[72:73], a[184:187]// 000000007004: D3E180B8 0EE2919C
	buffer_atomic_add_f32 v137, v8, s[32:35], 0 idxen          // 00000000700C: E1342000 80088908
	v_mfma_f32_16x16x16_bf16 a[188:191], a[158:159], v[72:73], a[188:191]// 000000007014: D3E180BC 0EF2919E
	ds_read_b128 v[56:59], v17 offset:19712                    // 00000000701C: D9FE4D00 38000011
	v_mfma_f32_16x16x16_bf16 a[192:195], a[144:145], v[74:75], a[192:195]// 000000007024: D3E180C0 0F029590
	v_mfma_f32_16x16x16_bf16 a[196:199], a[146:147], v[74:75], a[196:199]// 00000000702C: D3E180C4 0F129592
	ds_read_b128 v[60:63], v17 offset:20864                    // 000000007034: D9FE5180 3C000011
	v_mfma_f32_16x16x16_bf16 a[200:203], a[148:149], v[74:75], a[200:203]// 00000000703C: D3E180C8 0F229594
	v_mfma_f32_16x16x16_bf16 a[204:207], a[150:151], v[74:75], a[204:207]// 000000007044: D3E180CC 0F329596
	ds_read_b128 v[64:67], v17 offset:22016                    // 00000000704C: D9FE5600 40000011
	v_mfma_f32_16x16x16_bf16 a[208:211], a[152:153], v[74:75], a[208:211]// 000000007054: D3E180D0 0F429598
	buffer_atomic_add_f32 v138, v7, s[32:35], 0 idxen offset:128// 00000000705C: E1342080 80088A07
	v_mfma_f32_16x16x16_bf16 a[212:215], a[154:155], v[74:75], a[212:215]// 000000007064: D3E180D4 0F52959A
	ds_read_b128 v[68:71], v17 offset:23168                    // 00000000706C: D9FE5A80 44000011
	v_mfma_f32_16x16x16_bf16 a[216:219], a[156:157], v[74:75], a[216:219]// 000000007074: D3E180D8 0F62959C
	v_mfma_f32_16x16x16_bf16 a[220:223], a[158:159], v[74:75], a[220:223]// 00000000707C: D3E180DC 0F72959E
	ds_write_b32 v13, v88 offset:13056                         // 000000007084: D81A3300 0000580D
	v_mfma_f32_16x16x16_bf16 a[224:227], a[144:145], v[76:77], a[224:227]// 00000000708C: D3E180E0 0F829990
	v_mfma_f32_16x16x16_bf16 a[228:231], a[146:147], v[76:77], a[228:231]// 000000007094: D3E180E4 0F929992
	ds_write_b32 v13, v89 offset:14112                         // 00000000709C: D81A3720 0000590D
	v_mfma_f32_16x16x16_bf16 a[232:235], a[148:149], v[76:77], a[232:235]// 0000000070A4: D3E180E8 0FA29994
	buffer_atomic_add_f32 v139, v8, s[32:35], 0 idxen offset:128// 0000000070AC: E1342080 80088B08
	v_mfma_f32_16x16x16_bf16 a[236:239], a[150:151], v[76:77], a[236:239]// 0000000070B4: D3E180EC 0FB29996
	ds_write_b32 v13, v90 offset:13184                         // 0000000070BC: D81A3380 00005A0D
	v_mfma_f32_16x16x16_bf16 a[240:243], a[152:153], v[76:77], a[240:243]// 0000000070C4: D3E180F0 0FC29998
	v_mfma_f32_16x16x16_bf16 a[244:247], a[154:155], v[76:77], a[244:247]// 0000000070CC: D3E180F4 0FD2999A
	ds_write_b32 v13, v91 offset:14240                         // 0000000070D4: D81A37A0 00005B0D
	v_mfma_f32_16x16x16_bf16 a[248:251], a[156:157], v[76:77], a[248:251]// 0000000070DC: D3E180F8 0FE2999C
	v_mfma_f32_16x16x16_bf16 a[252:255], a[158:159], v[76:77], a[252:255]// 0000000070E4: D3E180FC 0FF2999E
	s_waitcnt vmcnt(8) lgkmcnt(4)                              // 0000000070EC: BF8C0478
	s_barrier                                                  // 0000000070F0: BF8A0000
	v_mfma_f32_16x16x16_bf16 v[128:131], v[48:49], a[48:49], 0 // 0000000070F4: D3E10080 12026130
	v_mul_f32_e32 v124, s49, v124                              // 0000000070FC: 0AF8F831
	s_nop 0                                                    // 000000007100: BF800000
	v_mfma_f32_16x16x16_bf16 v[128:131], v[50:51], a[52:53], v[128:131]// 000000007104: D3E10080 16026932
	ds_read_b128 a[144:147], v10                               // 00000000710C: DBFE0000 9000000A
	buffer_load_dword v32, v1, s[8:11], 0 idxen                // 000000007114: E0502000 80022001
	v_mfma_f32_16x16x16_bf16 v[128:131], v[52:53], a[56:57], v[128:131]// 00000000711C: D3E10080 16027134
	v_mfma_f32_16x16x16_bf16 v[128:131], v[54:55], a[60:61], v[128:131]// 000000007124: D3E10080 16027936
	ds_read_b128 a[148:151], v10 offset:512                    // 00000000712C: DBFE0200 9400000A
	buffer_load_dword v33, v2, s[8:11], 0 idxen                // 000000007134: E0502000 80022102
	v_mfma_f32_16x16x16_bf16 v[128:131], v[56:57], a[64:65], v[128:131]// 00000000713C: D3E10080 16028138
	v_perm_b32 v84, v37, v36, s63                              // 000000007144: D1ED0054 00FE4925
	v_perm_b32 v85, v37, v36, s64                              // 00000000714C: D1ED0055 01024925
	v_mfma_f32_16x16x16_bf16 v[128:131], v[58:59], a[68:69], v[128:131]// 000000007154: D3E10080 1602893A
	ds_read_b128 a[152:155], v10 offset:2176                   // 00000000715C: DBFE0880 9800000A
	buffer_load_dword v34, v3, s[8:11], 0 idxen                // 000000007164: E0502000 80022203
	v_mfma_f32_16x16x16_bf16 v[128:131], v[60:61], a[72:73], v[128:131]// 00000000716C: D3E10080 1602913C
	v_perm_b32 v86, v39, v38, s63                              // 000000007174: D1ED0056 00FE4D27
	v_perm_b32 v87, v39, v38, s64                              // 00000000717C: D1ED0057 01024D27
	v_mfma_f32_16x16x16_bf16 v[128:131], v[62:63], a[76:77], v[128:131]// 000000007184: D3E10080 1602993E
	ds_read_b128 a[156:159], v10 offset:2688                   // 00000000718C: DBFE0A80 9C00000A
	buffer_load_dword v35, v4, s[8:11], 0 idxen                // 000000007194: E0502000 80022304
	v_mfma_f32_16x16x16_bf16 v[128:131], v[64:65], a[80:81], v[128:131]// 00000000719C: D3E10080 1602A140
	v_perm_b32 v88, v45, v44, s63                              // 0000000071A4: D1ED0058 00FE592D
	v_perm_b32 v89, v45, v44, s64                              // 0000000071AC: D1ED0059 0102592D
	v_mfma_f32_16x16x16_bf16 v[128:131], v[66:67], a[84:85], v[128:131]// 0000000071B4: D3E10080 1602A942
	ds_read_b128 v[92:95], v10 offset:8704                     // 0000000071BC: D9FE2200 5C00000A
	buffer_load_dword v40, v1, s[20:23], 0 idxen               // 0000000071C4: E0502000 80052801
	v_mfma_f32_16x16x16_bf16 v[128:131], v[68:69], a[88:89], v[128:131]// 0000000071CC: D3E10080 1602B144
	v_perm_b32 v90, v47, v46, s63                              // 0000000071D4: D1ED005A 00FE5D2F
	v_perm_b32 v91, v47, v46, s64                              // 0000000071DC: D1ED005B 01025D2F
	v_mfma_f32_16x16x16_bf16 v[128:131], v[70:71], a[92:93], v[128:131]// 0000000071E4: D3E10080 1602B946
	ds_read_b128 v[96:99], v10 offset:9216                     // 0000000071EC: D9FE2400 6000000A
	buffer_load_dword v41, v2, s[20:23], 0 idxen               // 0000000071F4: E0502000 80052902
	v_mfma_f32_16x16x16_bf16 v[132:135], v[48:49], a[50:51], 0 // 0000000071FC: D3E10084 12026530
	v_mov_b32_dpp v127, v124 quad_perm:[3,3,3,3] row_mask:0xf bank_mask:0xf// 000000007204: 7EFE02FA FF00FF7C
	v_mov_b32_dpp v126, v124 quad_perm:[2,2,2,2] row_mask:0xf bank_mask:0xf// 00000000720C: 7EFC02FA FF00AA7C
	v_mfma_f32_16x16x16_bf16 v[132:135], v[50:51], a[54:55], v[132:135]// 000000007214: D3E10084 16126D32
	ds_read_b128 v[100:103], v10 offset:10880                  // 00000000721C: D9FE2A80 6400000A
	buffer_load_dword v42, v3, s[20:23], 0 idxen               // 000000007224: E0502000 80052A03
	v_mfma_f32_16x16x16_bf16 v[132:135], v[52:53], a[58:59], v[132:135]// 00000000722C: D3E10084 16127534
	v_mov_b32_dpp v125, v124 quad_perm:[1,1,1,1] row_mask:0xf bank_mask:0xf// 000000007234: 7EFA02FA FF00557C
	v_mov_b32_dpp v124, v124 quad_perm:[0,0,0,0] row_mask:0xf bank_mask:0xf// 00000000723C: 7EF802FA FF00007C
	s_add_u32 s60, 64, s59                                     // 000000007244: 803C3BC0
	v_mfma_f32_16x16x16_bf16 v[132:135], v[54:55], a[62:63], v[132:135]// 000000007248: D3E10084 16127D36
	ds_read_b128 v[104:107], v10 offset:11392                  // 000000007250: D9FE2C80 6800000A
	buffer_load_dword v43, v4, s[20:23], 0 idxen               // 000000007258: E0502000 80052B04
	v_mfma_f32_16x16x16_bf16 v[132:135], v[56:57], a[66:67], v[132:135]// 000000007260: D3E10084 16128538
	s_cmp_lt_u32 s60, s58                                      // 000000007268: BF0A3A3C
	s_cselect_b32 s68, s68, 0                                  // 00000000726C: 85448044
	s_cselect_b32 s69, s69, 0                                  // 000000007270: 85458045
	v_mfma_f32_16x16x16_bf16 v[132:135], v[58:59], a[70:71], v[132:135]// 000000007274: D3E10084 16128D3A
	buffer_load_dword v9, s[24:27], 0 idxen lds                // 00000000727C: E0512000 80060009
	v_mfma_f32_16x16x16_bf16 v[132:135], v[60:61], a[74:75], v[132:135]// 000000007284: D3E10084 1612953C
	s_add_u32 s8, s68, s8                                      // 00000000728C: 80080844
	s_addc_u32 s9, 0, s9                                       // 000000007290: 82090980
	v_mfma_f32_16x16x16_bf16 v[132:135], v[62:63], a[78:79], v[132:135]// 000000007294: D3E10084 16129D3E
	s_add_u32 s20, s68, s20                                    // 00000000729C: 80141444
	s_addc_u32 s21, 0, s21                                     // 0000000072A0: 82151580
	v_mfma_f32_16x16x16_bf16 v[132:135], v[64:65], a[82:83], v[132:135]// 0000000072A4: D3E10084 1612A540
	s_mov_b32 m0, s77                                          // 0000000072AC: BEFC004D
	v_add_u32_e32 v9, s69, v9                                  // 0000000072B0: 68121245
	v_mfma_f32_16x16x16_bf16 v[132:135], v[66:67], a[86:87], v[132:135]// 0000000072B4: D3E10084 1612AD42
	s_cmp_ge_u32 s59, 16                                       // 0000000072BC: BF09903B
	s_cselect_b32 s66, s67, s66                                // 0000000072C0: 85424243
	v_mfma_f32_16x16x16_bf16 v[132:135], v[68:69], a[90:91], v[132:135]// 0000000072C4: D3E10084 1612B544
	s_addk_i32 s59, 0x10                                       // 0000000072CC: B73B0010
	s_nop 0                                                    // 0000000072D0: BF800000
	s_cmp_lt_i32 s59, s58                                      // 0000000072D4: BF043A3B
	v_mfma_f32_16x16x16_bf16 v[132:135], v[70:71], a[94:95], v[132:135]// 0000000072D8: D3E10084 1612BD46
	s_cbranch_scc0 label_0D3A                                  // 0000000072E0: BF840001
	s_branch label_0787                                        // 0000000072E4: BF82FA4D

00000000000072e8 <label_0D3A>:
	s_nop 0                                                    // 0000000072E8: BF800000
	s_nop 0                                                    // 0000000072EC: BF800000
	s_branch label_12F0                                        // 0000000072F0: BF8205B3

00000000000072f4 <label_0D3D>:
	s_waitcnt lgkmcnt(4)                                       // 0000000072F4: BF8CC47F
	s_barrier                                                  // 0000000072F8: BF8A0000
	v_mfma_f32_16x16x16_bf16 v[48:51], a[144:145], a[0:1], 0   // 0000000072FC: D3E10030 1A020190
	v_mul_f32_e32 v128, s48, v128                              // 000000007304: 0B010030
	v_mul_f32_e32 v129, s48, v129                              // 000000007308: 0B030230
	v_mfma_f32_16x16x16_bf16 v[48:51], a[146:147], a[2:3], v[48:51]// 00000000730C: D3E10030 1CC20592
	ds_write_b32 v11, v44 offset:8704                          // 000000007314: D81A2200 00002C0B
	ds_write_b32 v11, v45 offset:9760                          // 00000000731C: D81A2620 00002D0B
	v_mfma_f32_16x16x16_bf16 v[48:51], a[148:149], a[4:5], v[48:51]// 000000007324: D3E10030 1CC20994
	v_mul_f32_e32 v130, s48, v130                              // 00000000732C: 0B050430
	v_mul_f32_e32 v131, s48, v131                              // 000000007330: 0B070630
	v_mfma_f32_16x16x16_bf16 v[48:51], a[150:151], a[6:7], v[48:51]// 000000007334: D3E10030 1CC20D96
	ds_write_b32 v11, v46 offset:8832                          // 00000000733C: D81A2280 00002E0B
	ds_write_b32 v11, v47 offset:9888                          // 000000007344: D81A26A0 00002F0B
	v_mfma_f32_16x16x16_bf16 v[48:51], a[152:153], a[8:9], v[48:51]// 00000000734C: D3E10030 1CC21198
	v_mul_f32_e32 v132, s48, v132                              // 000000007354: 0B090830
	v_mul_f32_e32 v133, s48, v133                              // 000000007358: 0B0B0A30
	v_mfma_f32_16x16x16_bf16 v[48:51], a[154:155], a[10:11], v[48:51]// 00000000735C: D3E10030 1CC2159A
	ds_write_b64 v20, v[128:129] offset:24320                  // 000000007364: D89A5F00 00008014
	v_mfma_f32_16x16x16_bf16 v[48:51], a[156:157], a[12:13], v[48:51]// 00000000736C: D3E10030 1CC2199C
	v_mul_f32_e32 v134, s48, v134                              // 000000007374: 0B0D0C30
	v_mul_f32_e32 v135, s48, v135                              // 000000007378: 0B0F0E30
	v_mfma_f32_16x16x16_bf16 v[48:51], a[158:159], a[14:15], v[48:51]// 00000000737C: D3E10030 1CC21D9E
	ds_write_b64 v20, v[130:131] offset:24832                  // 000000007384: D89A6100 00008214
	v_mfma_f32_16x16x16_bf16 v[52:55], a[144:145], a[16:17], 0 // 00000000738C: D3E10034 1A022190
	buffer_atomic_add_f32 v140, v7, s[32:35], 0 idxen offset:256// 000000007394: E1342100 80088C07
	v_mfma_f32_16x16x16_bf16 v[52:55], a[146:147], a[18:19], v[52:55]// 00000000739C: D3E10034 1CD22592
	ds_write_b64 v20, v[132:133] offset:25344                  // 0000000073A4: D89A6300 00008414
	v_mfma_f32_16x16x16_bf16 v[52:55], a[148:149], a[20:21], v[52:55]// 0000000073AC: D3E10034 1CD22994
	v_mfma_f32_16x16x16_bf16 v[52:55], a[150:151], a[22:23], v[52:55]// 0000000073B4: D3E10034 1CD22D96
	ds_write_b64 v20, v[134:135] offset:25856                  // 0000000073BC: D89A6500 00008614
	v_mfma_f32_16x16x16_bf16 v[52:55], a[152:153], a[24:25], v[52:55]// 0000000073C4: D3E10034 1CD23198
	buffer_atomic_add_f32 v141, v8, s[32:35], 0 idxen offset:256// 0000000073CC: E1342100 80088D08
	v_mfma_f32_16x16x16_bf16 v[52:55], a[154:155], a[26:27], v[52:55]// 0000000073D4: D3E10034 1CD2359A
	ds_read_b128 v[108:111], v12 offset:13056                  // 0000000073DC: D9FE3300 6C00000C
	ds_write_b32 v11, v36                                      // 0000000073E4: D81A0000 0000240B
	v_mfma_f32_16x16x16_bf16 v[52:55], a[156:157], a[28:29], v[52:55]// 0000000073EC: D3E10034 1CD2399C
	v_mfma_f32_16x16x16_bf16 v[52:55], a[158:159], a[30:31], v[52:55]// 0000000073F4: D3E10034 1CD23D9E
	v_mfma_f32_16x16x16_bf16 v[56:59], a[144:145], a[32:33], 0 // 0000000073FC: D3E10038 1A024190
	ds_read_b128 v[112:115], v12 offset:13568                  // 000000007404: D9FE3500 7000000C
	ds_write_b32 v11, v37 offset:1056                          // 00000000740C: D81A0420 0000250B
	v_mfma_f32_16x16x16_bf16 v[56:59], a[146:147], a[34:35], v[56:59]// 000000007414: D3E10038 1CE24592
	buffer_atomic_add_f32 v142, v7, s[32:35], 0 idxen offset:384// 00000000741C: E1342180 80088E07
	v_mfma_f32_16x16x16_bf16 v[56:59], a[148:149], a[36:37], v[56:59]// 000000007424: D3E10038 1CE24994
	v_mfma_f32_16x16x16_bf16 v[56:59], a[150:151], a[38:39], v[56:59]// 00000000742C: D3E10038 1CE24D96
	ds_read_b128 v[116:119], v12 offset:15232                  // 000000007434: D9FE3B80 7400000C
	ds_write_b32 v11, v38 offset:128                           // 00000000743C: D81A0080 0000260B
	v_mfma_f32_16x16x16_bf16 v[56:59], a[152:153], a[40:41], v[56:59]// 000000007444: D3E10038 1CE25198
	v_mfma_f32_16x16x16_bf16 v[56:59], a[154:155], a[42:43], v[56:59]// 00000000744C: D3E10038 1CE2559A
	buffer_atomic_add_f32 v143, v8, s[32:35], 0 idxen offset:384// 000000007454: E1342180 80088F08
	v_mfma_f32_16x16x16_bf16 v[56:59], a[156:157], a[44:45], v[56:59]// 00000000745C: D3E10038 1CE2599C
	ds_read_b128 v[120:123], v12 offset:15744                  // 000000007464: D9FE3D80 7800000C
	ds_write_b32 v11, v39 offset:1184                          // 00000000746C: D81A04A0 0000270B
	v_mfma_f32_16x16x16_bf16 v[56:59], a[158:159], a[46:47], v[56:59]// 000000007474: D3E10038 1CE25D9E
	s_cmp_lt_i32 s73, 3                                        // 00000000747C: BF048349
	s_cbranch_scc0 label_0DB0                                  // 000000007480: BF84000F
	s_cmp_eq_i32 s73, 1                                        // 000000007484: BF008149
	s_cbranch_scc1 label_0DA6                                  // 000000007488: BF850003
	s_cmp_eq_i32 s73, 2                                        // 00000000748C: BF008249
	s_cbranch_scc1 label_0DAB                                  // 000000007490: BF850006
	s_branch label_0DB0                                        // 000000007494: BF82000A

0000000000007498 <label_0DA6>:
	v_mov_b32_e32 v52, v151                                    // 000000007498: 7E680397
	v_mov_b32_e32 v53, v151                                    // 00000000749C: 7E6A0397
	v_mov_b32_e32 v54, v151                                    // 0000000074A0: 7E6C0397
	v_mov_b32_e32 v55, v151                                    // 0000000074A4: 7E6E0397
	s_branch label_0DAB                                        // 0000000074A8: BF820000

00000000000074ac <label_0DAB>:
	v_mov_b32_e32 v56, v151                                    // 0000000074AC: 7E700397
	v_mov_b32_e32 v57, v151                                    // 0000000074B0: 7E720397
	v_mov_b32_e32 v58, v151                                    // 0000000074B4: 7E740397
	v_mov_b32_e32 v59, v151                                    // 0000000074B8: 7E760397
	s_branch label_0DB0                                        // 0000000074BC: BF820000

00000000000074c0 <label_0DB0>:
	s_waitcnt lgkmcnt(8)                                       // 0000000074C0: BF8CC87F
	s_barrier                                                  // 0000000074C4: BF8A0000
	v_mfma_f32_16x16x16_bf16 v[72:75], v[92:93], a[96:97], 0   // 0000000074C8: D3E10048 1202C15C
	v_fma_f32 v48, v48, s57, -v124                             // 0000000074D0: D1CB0030 85F07330
	v_fma_f32 v49, v49, s57, -v125                             // 0000000074D8: D1CB0031 85F47331
	v_fma_f32 v50, v50, s57, -v126                             // 0000000074E0: D1CB0032 85F87332
	v_mfma_f32_16x16x16_bf16 v[72:75], v[94:95], a[98:99], v[72:75]// 0000000074E8: D3E10048 1522C55E
	ds_read_b128 a[144:147], v12 offset:4352                   // 0000000074F0: DBFE1100 9000000C
	ds_read_b128 a[148:151], v12 offset:4864                   // 0000000074F8: DBFE1300 9400000C
	v_mfma_f32_16x16x16_bf16 v[72:75], v[96:97], a[100:101], v[72:75]// 000000007500: D3E10048 1522C960
	v_fma_f32 v51, v51, s57, -v127                             // 000000007508: D1CB0033 85FC7333
	v_fma_f32 v52, v52, s57, -v124                             // 000000007510: D1CB0034 85F07334
	v_fma_f32 v53, v53, s57, -v125                             // 000000007518: D1CB0035 85F47335
	v_mfma_f32_16x16x16_bf16 v[72:75], v[98:99], a[102:103], v[72:75]// 000000007520: D3E10048 1522CD62
	v_fma_f32 v54, v54, s57, -v126                             // 000000007528: D1CB0036 85F87336
	v_fma_f32 v55, v55, s57, -v127                             // 000000007530: D1CB0037 85FC7337
	v_fma_f32 v56, v56, s57, -v124                             // 000000007538: D1CB0038 85F07338
	v_mfma_f32_16x16x16_bf16 v[72:75], v[100:101], a[104:105], v[72:75]// 000000007540: D3E10048 1522D164
	v_fma_f32 v57, v57, s57, -v125                             // 000000007548: D1CB0039 85F47339
	v_fma_f32 v58, v58, s57, -v126                             // 000000007550: D1CB003A 85F8733A
	v_fma_f32 v59, v59, s57, -v127                             // 000000007558: D1CB003B 85FC733B
	v_mfma_f32_16x16x16_bf16 v[72:75], v[102:103], a[106:107], v[72:75]// 000000007560: D3E10048 1522D566
	ds_read_b128 a[152:155], v12 offset:6528                   // 000000007568: DBFE1980 9800000C
	ds_read_b128 a[156:159], v12 offset:7040                   // 000000007570: DBFE1B80 9C00000C
	v_mfma_f32_16x16x16_bf16 v[72:75], v[104:105], a[108:109], v[72:75]// 000000007578: D3E10048 1522D968
	v_exp_f32_e32 v48, v48                                     // 000000007580: 7E604130
	v_mfma_f32_16x16x16_bf16 v[72:75], v[106:107], a[110:111], v[72:75]// 000000007584: D3E10048 1522DD6A
	v_exp_f32_e32 v49, v49                                     // 00000000758C: 7E624131
	v_mfma_f32_16x16x16_bf16 v[76:79], v[92:93], a[112:113], 0 // 000000007590: D3E1004C 1202E15C
	v_exp_f32_e32 v50, v50                                     // 000000007598: 7E644132
	v_mfma_f32_16x16x16_bf16 v[76:79], v[94:95], a[114:115], v[76:79]// 00000000759C: D3E1004C 1532E55E
	ds_read_b64 v[136:137], v19 offset:24320                   // 0000000075A4: D8EC5F00 88000013
	ds_read_b64 v[138:139], v19 offset:26368                   // 0000000075AC: D8EC6700 8A000013
	v_mfma_f32_16x16x16_bf16 v[76:79], v[96:97], a[116:117], v[76:79]// 0000000075B4: D3E1004C 1532E960
	v_exp_f32_e32 v51, v51                                     // 0000000075BC: 7E664133
	v_mfma_f32_16x16x16_bf16 v[76:79], v[98:99], a[118:119], v[76:79]// 0000000075C0: D3E1004C 1532ED62
	ds_read_b64 v[140:141], v19 offset:28416                   // 0000000075C8: D8EC6F00 8C000013
	ds_read_b64 v[142:143], v19 offset:30464                   // 0000000075D0: D8EC7700 8E000013
	v_mfma_f32_16x16x16_bf16 v[76:79], v[100:101], a[120:121], v[76:79]// 0000000075D8: D3E1004C 1532F164
	v_exp_f32_e32 v52, v52                                     // 0000000075E0: 7E684134
	v_mfma_f32_16x16x16_bf16 v[76:79], v[102:103], a[122:123], v[76:79]// 0000000075E4: D3E1004C 1532F566
	v_exp_f32_e32 v53, v53                                     // 0000000075EC: 7E6A4135
	v_mfma_f32_16x16x16_bf16 v[76:79], v[104:105], a[124:125], v[76:79]// 0000000075F0: D3E1004C 1532F968
	v_exp_f32_e32 v54, v54                                     // 0000000075F8: 7E6C4136
	v_mfma_f32_16x16x16_bf16 v[76:79], v[106:107], a[126:127], v[76:79]// 0000000075FC: D3E1004C 1532FD6A
	v_exp_f32_e32 v55, v55                                     // 000000007604: 7E6E4137
	v_mfma_f32_16x16x16_bf16 v[80:83], v[92:93], a[128:129], 0 // 000000007608: D3E10050 1203015C
	v_exp_f32_e32 v56, v56                                     // 000000007610: 7E704138
	v_mfma_f32_16x16x16_bf16 v[80:83], v[94:95], a[130:131], v[80:83]// 000000007614: D3E10050 1543055E
	v_exp_f32_e32 v57, v57                                     // 00000000761C: 7E724139
	v_mfma_f32_16x16x16_bf16 v[80:83], v[96:97], a[132:133], v[80:83]// 000000007620: D3E10050 15430960
	v_exp_f32_e32 v58, v58                                     // 000000007628: 7E74413A
	v_mfma_f32_16x16x16_bf16 v[80:83], v[98:99], a[134:135], v[80:83]// 00000000762C: D3E10050 15430D62
	v_exp_f32_e32 v59, v59                                     // 000000007634: 7E76413B
	v_mfma_f32_16x16x16_bf16 v[80:83], v[100:101], a[136:137], v[80:83]// 000000007638: D3E10050 15431164
	v_cmp_u_f32_e64 s[74:75], v48, v48                         // 000000007640: D048004A 00026130
	v_add3_u32 v248, v48, v251, 1                              // 000000007648: D1FF00F8 0207F730
	v_cndmask_b32_e64 v28, v248, v250, s[74:75]                // 000000007650: D100001C 012BF5F8
	v_cmp_u_f32_e64 s[74:75], v49, v49                         // 000000007658: D048004A 00026331
	v_add3_u32 v248, v49, v251, 1                              // 000000007660: D1FF00F8 0207F731
	v_cndmask_b32_e64 v29, v248, v250, s[74:75]                // 000000007668: D100001D 012BF5F8
	v_perm_b32 v144, v29, v28, s64                             // 000000007670: D1ED0090 0102391D
	v_cmp_u_f32_e64 s[74:75], v50, v50                         // 000000007678: D048004A 00026532
	v_add3_u32 v248, v50, v251, 1                              // 000000007680: D1FF00F8 0207F732
	v_cndmask_b32_e64 v28, v248, v250, s[74:75]                // 000000007688: D100001C 012BF5F8
	v_cmp_u_f32_e64 s[74:75], v51, v51                         // 000000007690: D048004A 00026733
	v_add3_u32 v248, v51, v251, 1                              // 000000007698: D1FF00F8 0207F733
	v_cndmask_b32_e64 v29, v248, v250, s[74:75]                // 0000000076A0: D100001D 012BF5F8
	v_perm_b32 v145, v29, v28, s64                             // 0000000076A8: D1ED0091 0102391D
	v_cmp_u_f32_e64 s[74:75], v52, v52                         // 0000000076B0: D048004A 00026934
	v_add3_u32 v248, v52, v251, 1                              // 0000000076B8: D1FF00F8 0207F734
	v_cndmask_b32_e64 v28, v248, v250, s[74:75]                // 0000000076C0: D100001C 012BF5F8
	v_cmp_u_f32_e64 s[74:75], v53, v53                         // 0000000076C8: D048004A 00026B35
	v_add3_u32 v248, v53, v251, 1                              // 0000000076D0: D1FF00F8 0207F735
	v_cndmask_b32_e64 v29, v248, v250, s[74:75]                // 0000000076D8: D100001D 012BF5F8
	v_perm_b32 v146, v29, v28, s64                             // 0000000076E0: D1ED0092 0102391D
	v_mfma_f32_16x16x16_bf16 v[80:83], v[102:103], a[138:139], v[80:83]// 0000000076E8: D3E10050 15431566
	v_cmp_u_f32_e64 s[74:75], v54, v54                         // 0000000076F0: D048004A 00026D36
	v_add3_u32 v248, v54, v251, 1                              // 0000000076F8: D1FF00F8 0207F736
	v_cndmask_b32_e64 v28, v248, v250, s[74:75]                // 000000007700: D100001C 012BF5F8
	v_cmp_u_f32_e64 s[74:75], v55, v55                         // 000000007708: D048004A 00026F37
	v_add3_u32 v248, v55, v251, 1                              // 000000007710: D1FF00F8 0207F737
	v_cndmask_b32_e64 v29, v248, v250, s[74:75]                // 000000007718: D100001D 012BF5F8
	v_perm_b32 v147, v29, v28, s64                             // 000000007720: D1ED0093 0102391D
	v_cmp_u_f32_e64 s[74:75], v56, v56                         // 000000007728: D048004A 00027138
	v_add3_u32 v248, v56, v251, 1                              // 000000007730: D1FF00F8 0207F738
	v_cndmask_b32_e64 v28, v248, v250, s[74:75]                // 000000007738: D100001C 012BF5F8
	v_cmp_u_f32_e64 s[74:75], v57, v57                         // 000000007740: D048004A 00027339
	v_add3_u32 v248, v57, v251, 1                              // 000000007748: D1FF00F8 0207F739
	v_cndmask_b32_e64 v29, v248, v250, s[74:75]                // 000000007750: D100001D 012BF5F8
	v_perm_b32 v148, v29, v28, s64                             // 000000007758: D1ED0094 0102391D
	v_cmp_u_f32_e64 s[74:75], v58, v58                         // 000000007760: D048004A 0002753A
	v_add3_u32 v248, v58, v251, 1                              // 000000007768: D1FF00F8 0207F73A
	v_cndmask_b32_e64 v28, v248, v250, s[74:75]                // 000000007770: D100001C 012BF5F8
	v_cmp_u_f32_e64 s[74:75], v59, v59                         // 000000007778: D048004A 0002773B
	v_add3_u32 v248, v59, v251, 1                              // 000000007780: D1FF00F8 0207F73B
	v_cndmask_b32_e64 v29, v248, v250, s[74:75]                // 000000007788: D100001D 012BF5F8
	v_perm_b32 v149, v29, v28, s64                             // 000000007790: D1ED0095 0102391D
	v_mfma_f32_16x16x16_bf16 v[80:83], v[104:105], a[140:141], v[80:83]// 000000007798: D3E10050 15431968
	s_add_u32 s32, s66, s32                                    // 0000000077A0: 80202042
	s_addc_u32 s33, 0, s33                                     // 0000000077A4: 82212180
	v_mfma_f32_16x16x16_bf16 v[80:83], v[106:107], a[142:143], v[80:83]// 0000000077A8: D3E10050 15431D6A
	s_waitcnt lgkmcnt(0)                                       // 0000000077B0: BF8CC07F
	s_barrier                                                  // 0000000077B4: BF8A0000
	v_mfma_f32_16x16x16_bf16 v[152:155], v[108:109], v[144:145], v[152:155]// 0000000077B8: D3E10098 0663216C
	v_subrev_f32_dpp v72, v150, v72 quad_perm:[0,0,0,0] row_mask:0xf bank_mask:0xf// 0000000077C0: 069090FA FF000096
	v_subrev_f32_dpp v73, v150, v73 quad_perm:[1,1,1,1] row_mask:0xf bank_mask:0xf// 0000000077C8: 069292FA FF005596
	v_subrev_f32_dpp v74, v150, v74 quad_perm:[2,2,2,2] row_mask:0xf bank_mask:0xf// 0000000077D0: 069494FA FF00AA96
	v_mfma_f32_16x16x16_bf16 v[156:159], v[110:111], v[144:145], v[156:159]// 0000000077D8: D3E1009C 0673216E
	v_subrev_f32_dpp v75, v150, v75 quad_perm:[3,3,3,3] row_mask:0xf bank_mask:0xf// 0000000077E0: 069696FA FF00FF96
	v_subrev_f32_dpp v76, v150, v76 quad_perm:[0,0,0,0] row_mask:0xf bank_mask:0xf// 0000000077E8: 069898FA FF000096
	v_subrev_f32_dpp v77, v150, v77 quad_perm:[1,1,1,1] row_mask:0xf bank_mask:0xf// 0000000077F0: 069A9AFA FF005596
	v_mfma_f32_16x16x16_bf16 v[160:163], v[112:113], v[144:145], v[160:163]// 0000000077F8: D3E100A0 06832170
	v_mul_f32_e32 v72, v48, v72                                // 000000007800: 0A909130
	v_mul_f32_e32 v73, v49, v73                                // 000000007804: 0A929331
	v_mul_f32_e32 v74, v50, v74                                // 000000007808: 0A949532
	v_mfma_f32_16x16x16_bf16 v[164:167], v[114:115], v[144:145], v[164:167]// 00000000780C: D3E100A4 06932172
	v_mul_f32_e32 v75, v51, v75                                // 000000007814: 0A969733
	v_mul_f32_e32 v76, v52, v76                                // 000000007818: 0A989934
	v_mul_f32_e32 v77, v53, v77                                // 00000000781C: 0A9A9B35
	v_mfma_f32_16x16x16_bf16 v[168:171], v[116:117], v[144:145], v[168:171]// 000000007820: D3E100A8 06A32174
	v_cmp_u_f32_e64 s[74:75], v72, v72                         // 000000007828: D048004A 00029148
	v_add3_u32 v248, v72, v251, 1                              // 000000007830: D1FF00F8 0207F748
	v_cndmask_b32_e64 v28, v248, v250, s[74:75]                // 000000007838: D100001C 012BF5F8
	v_cmp_u_f32_e64 s[74:75], v73, v73                         // 000000007840: D048004A 00029349
	v_add3_u32 v248, v73, v251, 1                              // 000000007848: D1FF00F8 0207F749
	v_cndmask_b32_e64 v29, v248, v250, s[74:75]                // 000000007850: D100001D 012BF5F8
	v_perm_b32 v72, v29, v28, s64                              // 000000007858: D1ED0048 0102391D
	v_cmp_u_f32_e64 s[74:75], v74, v74                         // 000000007860: D048004A 0002954A
	v_add3_u32 v248, v74, v251, 1                              // 000000007868: D1FF00F8 0207F74A
	v_cndmask_b32_e64 v28, v248, v250, s[74:75]                // 000000007870: D100001C 012BF5F8
	v_cmp_u_f32_e64 s[74:75], v75, v75                         // 000000007878: D048004A 0002974B
	v_add3_u32 v248, v75, v251, 1                              // 000000007880: D1FF00F8 0207F74B
	v_cndmask_b32_e64 v29, v248, v250, s[74:75]                // 000000007888: D100001D 012BF5F8
	v_perm_b32 v73, v29, v28, s64                              // 000000007890: D1ED0049 0102391D
	v_cmp_u_f32_e64 s[74:75], v76, v76                         // 000000007898: D048004A 0002994C
	v_add3_u32 v248, v76, v251, 1                              // 0000000078A0: D1FF00F8 0207F74C
	v_cndmask_b32_e64 v28, v248, v250, s[74:75]                // 0000000078A8: D100001C 012BF5F8
	v_cmp_u_f32_e64 s[74:75], v77, v77                         // 0000000078B0: D048004A 00029B4D
	v_add3_u32 v248, v77, v251, 1                              // 0000000078B8: D1FF00F8 0207F74D
	v_cndmask_b32_e64 v29, v248, v250, s[74:75]                // 0000000078C0: D100001D 012BF5F8
	v_perm_b32 v74, v29, v28, s64                              // 0000000078C8: D1ED004A 0102391D
	v_mfma_f32_16x16x16_bf16 v[172:175], v[118:119], v[144:145], v[172:175]// 0000000078D0: D3E100AC 06B32176
	v_mov_b32_dpp v16, v72 quad_perm:[1,0,3,2] row_mask:0xf bank_mask:0xf// 0000000078D8: 7E2002FA FF00B148
	v_perm_b32 v48, v16, v72, v15                              // 0000000078E0: D1ED0030 043E9110
	v_mov_b32_dpp v16, v73 quad_perm:[1,0,3,2] row_mask:0xf bank_mask:0xf// 0000000078E8: 7E2002FA FF00B149
	v_mfma_f32_16x16x16_bf16 v[176:179], v[120:121], v[144:145], v[176:179]// 0000000078F0: D3E100B0 06C32178
	ds_write_b32 v18, v48 offset:17408                         // 0000000078F8: D81A4400 00003012
	v_mfma_f32_16x16x16_bf16 v[180:183], v[122:123], v[144:145], v[180:183]// 000000007900: D3E100B4 06D3217A
	v_perm_b32 v49, v16, v73, v15                              // 000000007908: D1ED0031 043E9310
	v_mov_b32_dpp v16, v74 quad_perm:[1,0,3,2] row_mask:0xf bank_mask:0xf// 000000007910: 7E2002FA FF00B14A
	v_perm_b32 v50, v16, v74, v15                              // 000000007918: D1ED0032 043E9510
	v_mfma_f32_16x16x16_bf16 v[184:187], v[108:109], v[146:147], v[184:187]// 000000007920: D3E100B8 06E3256C
	ds_write_b32 v18, v49 offset:17952                         // 000000007928: D81A4620 00003112
	v_mfma_f32_16x16x16_bf16 v[188:191], v[110:111], v[146:147], v[188:191]// 000000007930: D3E100BC 06F3256E
	v_subrev_f32_dpp v78, v150, v78 quad_perm:[2,2,2,2] row_mask:0xf bank_mask:0xf// 000000007938: 069C9CFA FF00AA96
	v_subrev_f32_dpp v79, v150, v79 quad_perm:[3,3,3,3] row_mask:0xf bank_mask:0xf// 000000007940: 069E9EFA FF00FF96
	v_subrev_f32_dpp v80, v150, v80 quad_perm:[0,0,0,0] row_mask:0xf bank_mask:0xf// 000000007948: 06A0A0FA FF000096
	v_mfma_f32_16x16x16_bf16 v[192:195], v[112:113], v[146:147], v[192:195]// 000000007950: D3E100C0 07032570
	ds_write_b32 v18, v50 offset:19712                         // 000000007958: D81A4D00 00003212
	v_mfma_f32_16x16x16_bf16 v[196:199], v[114:115], v[146:147], v[196:199]// 000000007960: D3E100C4 07132572
	v_subrev_f32_dpp v81, v150, v81 quad_perm:[1,1,1,1] row_mask:0xf bank_mask:0xf// 000000007968: 06A2A2FA FF005596
	v_subrev_f32_dpp v82, v150, v82 quad_perm:[2,2,2,2] row_mask:0xf bank_mask:0xf// 000000007970: 06A4A4FA FF00AA96
	v_subrev_f32_dpp v83, v150, v83 quad_perm:[3,3,3,3] row_mask:0xf bank_mask:0xf// 000000007978: 06A6A6FA FF00FF96
	v_mfma_f32_16x16x16_bf16 v[200:203], v[116:117], v[146:147], v[200:203]// 000000007980: D3E100C8 07232574
	v_mul_f32_e32 v78, v54, v78                                // 000000007988: 0A9C9D36
	v_mul_f32_e32 v79, v55, v79                                // 00000000798C: 0A9E9F37
	v_mul_f32_e32 v80, v56, v80                                // 000000007990: 0AA0A138
	v_mfma_f32_16x16x16_bf16 v[204:207], v[118:119], v[146:147], v[204:207]// 000000007994: D3E100CC 07332576
	v_mul_f32_e32 v81, v57, v81                                // 00000000799C: 0AA2A339
	v_mul_f32_e32 v82, v58, v82                                // 0000000079A0: 0AA4A53A
	v_mul_f32_e32 v83, v59, v83                                // 0000000079A4: 0AA6A73B
	v_mfma_f32_16x16x16_bf16 v[208:211], v[120:121], v[146:147], v[208:211]// 0000000079A8: D3E100D0 07432578
	v_cmp_u_f32_e64 s[74:75], v78, v78                         // 0000000079B0: D048004A 00029D4E
	v_add3_u32 v248, v78, v251, 1                              // 0000000079B8: D1FF00F8 0207F74E
	v_cndmask_b32_e64 v28, v248, v250, s[74:75]                // 0000000079C0: D100001C 012BF5F8
	v_cmp_u_f32_e64 s[74:75], v79, v79                         // 0000000079C8: D048004A 00029F4F
	v_add3_u32 v248, v79, v251, 1                              // 0000000079D0: D1FF00F8 0207F74F
	v_cndmask_b32_e64 v29, v248, v250, s[74:75]                // 0000000079D8: D100001D 012BF5F8
	v_perm_b32 v75, v29, v28, s64                              // 0000000079E0: D1ED004B 0102391D
	v_cmp_u_f32_e64 s[74:75], v80, v80                         // 0000000079E8: D048004A 0002A150
	v_add3_u32 v248, v80, v251, 1                              // 0000000079F0: D1FF00F8 0207F750
	v_cndmask_b32_e64 v28, v248, v250, s[74:75]                // 0000000079F8: D100001C 012BF5F8
	v_cmp_u_f32_e64 s[74:75], v81, v81                         // 000000007A00: D048004A 0002A351
	v_add3_u32 v248, v81, v251, 1                              // 000000007A08: D1FF00F8 0207F751
	v_cndmask_b32_e64 v29, v248, v250, s[74:75]                // 000000007A10: D100001D 012BF5F8
	v_perm_b32 v76, v29, v28, s64                              // 000000007A18: D1ED004C 0102391D
	v_cmp_u_f32_e64 s[74:75], v82, v82                         // 000000007A20: D048004A 0002A552
	v_add3_u32 v248, v82, v251, 1                              // 000000007A28: D1FF00F8 0207F752
	v_cndmask_b32_e64 v28, v248, v250, s[74:75]                // 000000007A30: D100001C 012BF5F8
	v_cmp_u_f32_e64 s[74:75], v83, v83                         // 000000007A38: D048004A 0002A753
	v_add3_u32 v248, v83, v251, 1                              // 000000007A40: D1FF00F8 0207F753
	v_cndmask_b32_e64 v29, v248, v250, s[74:75]                // 000000007A48: D100001D 012BF5F8
	v_perm_b32 v77, v29, v28, s64                              // 000000007A50: D1ED004D 0102391D
	v_mfma_f32_16x16x16_bf16 v[212:215], v[122:123], v[146:147], v[212:215]// 000000007A58: D3E100D4 0753257A
	v_mov_b32_dpp v16, v75 quad_perm:[1,0,3,2] row_mask:0xf bank_mask:0xf// 000000007A60: 7E2002FA FF00B14B
	v_perm_b32 v51, v16, v75, v15                              // 000000007A68: D1ED0033 043E9710
	v_mov_b32_dpp v16, v76 quad_perm:[1,0,3,2] row_mask:0xf bank_mask:0xf// 000000007A70: 7E2002FA FF00B14C
	v_mfma_f32_16x16x16_bf16 v[216:219], v[108:109], v[148:149], v[216:219]// 000000007A78: D3E100D8 0763296C
	ds_write_b32 v18, v51 offset:20256                         // 000000007A80: D81A4F20 00003312
	v_mfma_f32_16x16x16_bf16 v[220:223], v[110:111], v[148:149], v[220:223]// 000000007A88: D3E100DC 0773296E
	v_perm_b32 v52, v16, v76, v15                              // 000000007A90: D1ED0034 043E9910
	v_mov_b32_dpp v16, v77 quad_perm:[1,0,3,2] row_mask:0xf bank_mask:0xf// 000000007A98: 7E2002FA FF00B14D
	v_perm_b32 v53, v16, v77, v15                              // 000000007AA0: D1ED0035 043E9B10
	v_mfma_f32_16x16x16_bf16 v[224:227], v[112:113], v[148:149], v[224:227]// 000000007AA8: D3E100E0 07832970
	ds_write_b32 v18, v52 offset:22016                         // 000000007AB0: D81A5600 00003412
	ds_write_b32 v18, v53 offset:22560                         // 000000007AB8: D81A5820 00003512
	v_mfma_f32_16x16x16_bf16 v[228:231], v[114:115], v[148:149], v[228:231]// 000000007AC0: D3E100E4 07932972
	v_mfma_f32_16x16x16_bf16 v[232:235], v[116:117], v[148:149], v[232:235]// 000000007AC8: D3E100E8 07A32974
	ds_write_b32 v13, v84 offset:4352                          // 000000007AD0: D81A1100 0000540D
	ds_write_b32 v13, v85 offset:5408                          // 000000007AD8: D81A1520 0000550D
	v_mfma_f32_16x16x16_bf16 v[236:239], v[118:119], v[148:149], v[236:239]// 000000007AE0: D3E100EC 07B32976
	v_mfma_f32_16x16x16_bf16 v[240:243], v[120:121], v[148:149], v[240:243]// 000000007AE8: D3E100F0 07C32978
	ds_write_b32 v13, v86 offset:4480                          // 000000007AF0: D81A1180 0000560D
	ds_write_b32 v13, v87 offset:5536                          // 000000007AF8: D81A15A0 0000570D
	v_mfma_f32_16x16x16_bf16 v[244:247], v[122:123], v[148:149], v[244:247]// 000000007B00: D3E100F4 07D3297A
	s_nop 0                                                    // 000000007B08: BF800000
	s_nop 0                                                    // 000000007B0C: BF800000
	s_nop 0                                                    // 000000007B10: BF800000
	s_barrier                                                  // 000000007B14: BF8A0000
	v_mfma_f32_16x16x16_bf16 a[160:163], a[144:145], v[72:73], a[160:163]// 000000007B18: D3E180A0 0E829190
	ds_read_b32 v124, v21 offset:51200                         // 000000007B20: D86CC800 7C000015
	ds_read_b32 v150, v21 offset:51456                         // 000000007B28: D86CC900 96000015
	v_mfma_f32_16x16x16_bf16 a[164:167], a[146:147], v[72:73], a[164:167]// 000000007B30: D3E180A4 0E929192
	buffer_atomic_add_f32 v136, v7, s[32:35], 0 idxen          // 000000007B38: E1342000 80088807
	v_mfma_f32_16x16x16_bf16 a[168:171], a[148:149], v[72:73], a[168:171]// 000000007B40: D3E180A8 0EA29194
	s_waitcnt lgkmcnt(6)                                       // 000000007B48: BF8CC67F
	s_barrier                                                  // 000000007B4C: BF8A0000
	v_mfma_f32_16x16x16_bf16 a[172:175], a[150:151], v[72:73], a[172:175]// 000000007B50: D3E180AC 0EB29196
	v_mfma_f32_16x16x16_bf16 a[176:179], a[152:153], v[72:73], a[176:179]// 000000007B58: D3E180B0 0EC29198
	ds_read_b128 v[48:51], v17 offset:17408                    // 000000007B60: D9FE4400 30000011
	v_mfma_f32_16x16x16_bf16 a[180:183], a[154:155], v[72:73], a[180:183]// 000000007B68: D3E180B4 0ED2919A
	v_mfma_f32_16x16x16_bf16 a[184:187], a[156:157], v[72:73], a[184:187]// 000000007B70: D3E180B8 0EE2919C
	ds_read_b128 v[52:55], v17 offset:18560                    // 000000007B78: D9FE4880 34000011
	v_mfma_f32_16x16x16_bf16 a[188:191], a[158:159], v[72:73], a[188:191]// 000000007B80: D3E180BC 0EF2919E
	buffer_atomic_add_f32 v137, v8, s[32:35], 0 idxen          // 000000007B88: E1342000 80088908
	v_mfma_f32_16x16x16_bf16 a[192:195], a[144:145], v[74:75], a[192:195]// 000000007B90: D3E180C0 0F029590
	ds_read_b128 v[56:59], v17 offset:19712                    // 000000007B98: D9FE4D00 38000011
	v_mfma_f32_16x16x16_bf16 a[196:199], a[146:147], v[74:75], a[196:199]// 000000007BA0: D3E180C4 0F129592
	v_mfma_f32_16x16x16_bf16 a[200:203], a[148:149], v[74:75], a[200:203]// 000000007BA8: D3E180C8 0F229594
	ds_read_b128 v[60:63], v17 offset:20864                    // 000000007BB0: D9FE5180 3C000011
	v_mfma_f32_16x16x16_bf16 a[204:207], a[150:151], v[74:75], a[204:207]// 000000007BB8: D3E180CC 0F329596
	v_mfma_f32_16x16x16_bf16 a[208:211], a[152:153], v[74:75], a[208:211]// 000000007BC0: D3E180D0 0F429598
	ds_read_b128 v[64:67], v17 offset:22016                    // 000000007BC8: D9FE5600 40000011
	v_mfma_f32_16x16x16_bf16 a[212:215], a[154:155], v[74:75], a[212:215]// 000000007BD0: D3E180D4 0F52959A
	buffer_atomic_add_f32 v138, v7, s[32:35], 0 idxen offset:128// 000000007BD8: E1342080 80088A07
	v_mfma_f32_16x16x16_bf16 a[216:219], a[156:157], v[74:75], a[216:219]// 000000007BE0: D3E180D8 0F62959C
	ds_read_b128 v[68:71], v17 offset:23168                    // 000000007BE8: D9FE5A80 44000011
	v_mfma_f32_16x16x16_bf16 a[220:223], a[158:159], v[74:75], a[220:223]// 000000007BF0: D3E180DC 0F72959E
	v_mfma_f32_16x16x16_bf16 a[224:227], a[144:145], v[76:77], a[224:227]// 000000007BF8: D3E180E0 0F829990
	ds_write_b32 v13, v88 offset:13056                         // 000000007C00: D81A3300 0000580D
	v_mfma_f32_16x16x16_bf16 a[228:231], a[146:147], v[76:77], a[228:231]// 000000007C08: D3E180E4 0F929992
	v_mfma_f32_16x16x16_bf16 a[232:235], a[148:149], v[76:77], a[232:235]// 000000007C10: D3E180E8 0FA29994
	ds_write_b32 v13, v89 offset:14112                         // 000000007C18: D81A3720 0000590D
	v_mfma_f32_16x16x16_bf16 a[236:239], a[150:151], v[76:77], a[236:239]// 000000007C20: D3E180EC 0FB29996
	buffer_atomic_add_f32 v139, v8, s[32:35], 0 idxen offset:128// 000000007C28: E1342080 80088B08
	v_mfma_f32_16x16x16_bf16 a[240:243], a[152:153], v[76:77], a[240:243]// 000000007C30: D3E180F0 0FC29998
	ds_write_b32 v13, v90 offset:13184                         // 000000007C38: D81A3380 00005A0D
	v_mfma_f32_16x16x16_bf16 a[244:247], a[154:155], v[76:77], a[244:247]// 000000007C40: D3E180F4 0FD2999A
	v_mfma_f32_16x16x16_bf16 a[248:251], a[156:157], v[76:77], a[248:251]// 000000007C48: D3E180F8 0FE2999C
	ds_write_b32 v13, v91 offset:14240                         // 000000007C50: D81A37A0 00005B0D
	v_mfma_f32_16x16x16_bf16 a[252:255], a[158:159], v[76:77], a[252:255]// 000000007C58: D3E180FC 0FF2999E
	s_waitcnt vmcnt(8) lgkmcnt(4)                              // 000000007C60: BF8C0478
	s_barrier                                                  // 000000007C64: BF8A0000
	v_mfma_f32_16x16x16_bf16 v[128:131], v[48:49], a[48:49], 0 // 000000007C68: D3E10080 12026130
	ds_read_b128 a[144:147], v10                               // 000000007C70: DBFE0000 9000000A
	buffer_load_dword v36, v1, s[8:11], 0 idxen                // 000000007C78: E0502000 80022401
	v_mfma_f32_16x16x16_bf16 v[128:131], v[50:51], a[52:53], v[128:131]// 000000007C80: D3E10080 16026932
	v_mul_f32_e32 v124, s49, v124                              // 000000007C88: 0AF8F831
	s_nop 0                                                    // 000000007C8C: BF800000
	v_mfma_f32_16x16x16_bf16 v[128:131], v[52:53], a[56:57], v[128:131]// 000000007C90: D3E10080 16027134
	ds_read_b128 a[148:151], v10 offset:512                    // 000000007C98: DBFE0200 9400000A
	buffer_load_dword v37, v2, s[8:11], 0 idxen                // 000000007CA0: E0502000 80022502
	v_mfma_f32_16x16x16_bf16 v[128:131], v[54:55], a[60:61], v[128:131]// 000000007CA8: D3E10080 16027936
	v_mfma_f32_16x16x16_bf16 v[128:131], v[56:57], a[64:65], v[128:131]// 000000007CB0: D3E10080 16028138
	ds_read_b128 a[152:155], v10 offset:2176                   // 000000007CB8: DBFE0880 9800000A
	buffer_load_dword v38, v3, s[8:11], 0 idxen                // 000000007CC0: E0502000 80022603
	v_mfma_f32_16x16x16_bf16 v[128:131], v[58:59], a[68:69], v[128:131]// 000000007CC8: D3E10080 1602893A
	v_perm_b32 v84, v33, v32, s63                              // 000000007CD0: D1ED0054 00FE4121
	v_perm_b32 v85, v33, v32, s64                              // 000000007CD8: D1ED0055 01024121
	v_mfma_f32_16x16x16_bf16 v[128:131], v[60:61], a[72:73], v[128:131]// 000000007CE0: D3E10080 1602913C
	ds_read_b128 a[156:159], v10 offset:2688                   // 000000007CE8: DBFE0A80 9C00000A
	buffer_load_dword v39, v4, s[8:11], 0 idxen                // 000000007CF0: E0502000 80022704
	v_mfma_f32_16x16x16_bf16 v[128:131], v[62:63], a[76:77], v[128:131]// 000000007CF8: D3E10080 1602993E
	v_perm_b32 v86, v35, v34, s63                              // 000000007D00: D1ED0056 00FE4523
	v_perm_b32 v87, v35, v34, s64                              // 000000007D08: D1ED0057 01024523
	v_mfma_f32_16x16x16_bf16 v[128:131], v[64:65], a[80:81], v[128:131]// 000000007D10: D3E10080 1602A140
	ds_read_b128 v[92:95], v10 offset:8704                     // 000000007D18: D9FE2200 5C00000A
	buffer_load_dword v44, v1, s[20:23], 0 idxen               // 000000007D20: E0502000 80052C01
	v_mfma_f32_16x16x16_bf16 v[128:131], v[66:67], a[84:85], v[128:131]// 000000007D28: D3E10080 1602A942
	v_perm_b32 v88, v41, v40, s63                              // 000000007D30: D1ED0058 00FE5129
	v_perm_b32 v89, v41, v40, s64                              // 000000007D38: D1ED0059 01025129
	v_mfma_f32_16x16x16_bf16 v[128:131], v[68:69], a[88:89], v[128:131]// 000000007D40: D3E10080 1602B144
	ds_read_b128 v[96:99], v10 offset:9216                     // 000000007D48: D9FE2400 6000000A
	buffer_load_dword v45, v2, s[20:23], 0 idxen               // 000000007D50: E0502000 80052D02
	v_mfma_f32_16x16x16_bf16 v[128:131], v[70:71], a[92:93], v[128:131]// 000000007D58: D3E10080 1602B946
	v_perm_b32 v90, v43, v42, s63                              // 000000007D60: D1ED005A 00FE552B
	v_perm_b32 v91, v43, v42, s64                              // 000000007D68: D1ED005B 0102552B
	v_mfma_f32_16x16x16_bf16 v[132:135], v[48:49], a[50:51], 0 // 000000007D70: D3E10084 12026530
	ds_read_b128 v[100:103], v10 offset:10880                  // 000000007D78: D9FE2A80 6400000A
	buffer_load_dword v46, v3, s[20:23], 0 idxen               // 000000007D80: E0502000 80052E03
	v_mfma_f32_16x16x16_bf16 v[132:135], v[50:51], a[54:55], v[132:135]// 000000007D88: D3E10084 16126D32
	v_mov_b32_dpp v127, v124 quad_perm:[3,3,3,3] row_mask:0xf bank_mask:0xf// 000000007D90: 7EFE02FA FF00FF7C
	v_mov_b32_dpp v126, v124 quad_perm:[2,2,2,2] row_mask:0xf bank_mask:0xf// 000000007D98: 7EFC02FA FF00AA7C
	v_mfma_f32_16x16x16_bf16 v[132:135], v[52:53], a[58:59], v[132:135]// 000000007DA0: D3E10084 16127534
	ds_read_b128 v[104:107], v10 offset:11392                  // 000000007DA8: D9FE2C80 6800000A
	buffer_load_dword v47, v4, s[20:23], 0 idxen               // 000000007DB0: E0502000 80052F04
	v_mfma_f32_16x16x16_bf16 v[132:135], v[54:55], a[62:63], v[132:135]// 000000007DB8: D3E10084 16127D36
	v_mov_b32_dpp v125, v124 quad_perm:[1,1,1,1] row_mask:0xf bank_mask:0xf// 000000007DC0: 7EFA02FA FF00557C
	v_mov_b32_dpp v124, v124 quad_perm:[0,0,0,0] row_mask:0xf bank_mask:0xf// 000000007DC8: 7EF802FA FF00007C
	s_add_u32 s60, 64, s59                                     // 000000007DD0: 803C3BC0
	v_mfma_f32_16x16x16_bf16 v[132:135], v[56:57], a[66:67], v[132:135]// 000000007DD4: D3E10084 16128538
	buffer_load_dword v9, s[24:27], 0 idxen lds                // 000000007DDC: E0512000 80060009
	v_mfma_f32_16x16x16_bf16 v[132:135], v[58:59], a[70:71], v[132:135]// 000000007DE4: D3E10084 16128D3A
	s_cmp_lt_u32 s60, s58                                      // 000000007DEC: BF0A3A3C
	s_cselect_b32 s68, s68, 0                                  // 000000007DF0: 85448044
	s_cselect_b32 s69, s69, 0                                  // 000000007DF4: 85458045
	v_mfma_f32_16x16x16_bf16 v[132:135], v[60:61], a[74:75], v[132:135]// 000000007DF8: D3E10084 1612953C
	s_add_u32 s8, s68, s8                                      // 000000007E00: 80080844
	s_addc_u32 s9, 0, s9                                       // 000000007E04: 82090980
	v_mfma_f32_16x16x16_bf16 v[132:135], v[62:63], a[78:79], v[132:135]// 000000007E08: D3E10084 16129D3E
	s_add_u32 s20, s68, s20                                    // 000000007E10: 80141444
	s_addc_u32 s21, 0, s21                                     // 000000007E14: 82151580
	v_mfma_f32_16x16x16_bf16 v[132:135], v[64:65], a[82:83], v[132:135]// 000000007E18: D3E10084 1612A540
	s_mov_b32 m0, s76                                          // 000000007E20: BEFC004C
	v_add_u32_e32 v9, s69, v9                                  // 000000007E24: 68121245
	v_mfma_f32_16x16x16_bf16 v[132:135], v[66:67], a[86:87], v[132:135]// 000000007E28: D3E10084 1612AD42
	s_cmp_ge_u32 s59, 16                                       // 000000007E30: BF09903B
	s_cselect_b32 s66, s67, s66                                // 000000007E34: 85424243
	v_mfma_f32_16x16x16_bf16 v[132:135], v[68:69], a[90:91], v[132:135]// 000000007E38: D3E10084 1612B544
	s_addk_i32 s59, 0x10                                       // 000000007E40: B73B0010
	s_nop 0                                                    // 000000007E44: BF800000
	s_cmp_lt_i32 s59, s58                                      // 000000007E48: BF043A3B
	v_mfma_f32_16x16x16_bf16 v[132:135], v[70:71], a[94:95], v[132:135]// 000000007E4C: D3E10084 1612BD46
	s_cbranch_scc0 label_0D3A                                  // 000000007E54: BF84FD24
	s_waitcnt lgkmcnt(4)                                       // 000000007E58: BF8CC47F
	s_barrier                                                  // 000000007E5C: BF8A0000
	v_mfma_f32_16x16x16_bf16 v[48:51], a[144:145], a[0:1], 0   // 000000007E60: D3E10030 1A020190
	v_mul_f32_e32 v128, s48, v128                              // 000000007E68: 0B010030
	v_mul_f32_e32 v129, s48, v129                              // 000000007E6C: 0B030230
	v_mfma_f32_16x16x16_bf16 v[48:51], a[146:147], a[2:3], v[48:51]// 000000007E70: D3E10030 1CC20592
	ds_write_b32 v11, v40 offset:8704                          // 000000007E78: D81A2200 0000280B
	ds_write_b32 v11, v41 offset:9760                          // 000000007E80: D81A2620 0000290B
	v_mfma_f32_16x16x16_bf16 v[48:51], a[148:149], a[4:5], v[48:51]// 000000007E88: D3E10030 1CC20994
	v_mul_f32_e32 v130, s48, v130                              // 000000007E90: 0B050430
	v_mul_f32_e32 v131, s48, v131                              // 000000007E94: 0B070630
	v_mfma_f32_16x16x16_bf16 v[48:51], a[150:151], a[6:7], v[48:51]// 000000007E98: D3E10030 1CC20D96
	ds_write_b32 v11, v42 offset:8832                          // 000000007EA0: D81A2280 00002A0B
	ds_write_b32 v11, v43 offset:9888                          // 000000007EA8: D81A26A0 00002B0B
	v_mfma_f32_16x16x16_bf16 v[48:51], a[152:153], a[8:9], v[48:51]// 000000007EB0: D3E10030 1CC21198
	v_mul_f32_e32 v132, s48, v132                              // 000000007EB8: 0B090830
	v_mul_f32_e32 v133, s48, v133                              // 000000007EBC: 0B0B0A30
	v_mfma_f32_16x16x16_bf16 v[48:51], a[154:155], a[10:11], v[48:51]// 000000007EC0: D3E10030 1CC2159A
	ds_write_b64 v20, v[128:129] offset:24320                  // 000000007EC8: D89A5F00 00008014
	v_mfma_f32_16x16x16_bf16 v[48:51], a[156:157], a[12:13], v[48:51]// 000000007ED0: D3E10030 1CC2199C
	v_mul_f32_e32 v134, s48, v134                              // 000000007ED8: 0B0D0C30
	v_mul_f32_e32 v135, s48, v135                              // 000000007EDC: 0B0F0E30
	v_mfma_f32_16x16x16_bf16 v[48:51], a[158:159], a[14:15], v[48:51]// 000000007EE0: D3E10030 1CC21D9E
	ds_write_b64 v20, v[130:131] offset:24832                  // 000000007EE8: D89A6100 00008214
	v_mfma_f32_16x16x16_bf16 v[52:55], a[144:145], a[16:17], 0 // 000000007EF0: D3E10034 1A022190
	buffer_atomic_add_f32 v140, v7, s[32:35], 0 idxen offset:256// 000000007EF8: E1342100 80088C07
	v_mfma_f32_16x16x16_bf16 v[52:55], a[146:147], a[18:19], v[52:55]// 000000007F00: D3E10034 1CD22592
	ds_write_b64 v20, v[132:133] offset:25344                  // 000000007F08: D89A6300 00008414
	v_mfma_f32_16x16x16_bf16 v[52:55], a[148:149], a[20:21], v[52:55]// 000000007F10: D3E10034 1CD22994
	v_mfma_f32_16x16x16_bf16 v[52:55], a[150:151], a[22:23], v[52:55]// 000000007F18: D3E10034 1CD22D96
	ds_write_b64 v20, v[134:135] offset:25856                  // 000000007F20: D89A6500 00008614
	v_mfma_f32_16x16x16_bf16 v[52:55], a[152:153], a[24:25], v[52:55]// 000000007F28: D3E10034 1CD23198
	buffer_atomic_add_f32 v141, v8, s[32:35], 0 idxen offset:256// 000000007F30: E1342100 80088D08
	v_mfma_f32_16x16x16_bf16 v[52:55], a[154:155], a[26:27], v[52:55]// 000000007F38: D3E10034 1CD2359A
	ds_read_b128 v[108:111], v12 offset:13056                  // 000000007F40: D9FE3300 6C00000C
	ds_write_b32 v11, v32                                      // 000000007F48: D81A0000 0000200B
	v_mfma_f32_16x16x16_bf16 v[52:55], a[156:157], a[28:29], v[52:55]// 000000007F50: D3E10034 1CD2399C
	v_mfma_f32_16x16x16_bf16 v[52:55], a[158:159], a[30:31], v[52:55]// 000000007F58: D3E10034 1CD23D9E
	v_mfma_f32_16x16x16_bf16 v[56:59], a[144:145], a[32:33], 0 // 000000007F60: D3E10038 1A024190
	ds_read_b128 v[112:115], v12 offset:13568                  // 000000007F68: D9FE3500 7000000C
	ds_write_b32 v11, v33 offset:1056                          // 000000007F70: D81A0420 0000210B
	v_mfma_f32_16x16x16_bf16 v[56:59], a[146:147], a[34:35], v[56:59]// 000000007F78: D3E10038 1CE24592
	buffer_atomic_add_f32 v142, v7, s[32:35], 0 idxen offset:384// 000000007F80: E1342180 80088E07
	v_mfma_f32_16x16x16_bf16 v[56:59], a[148:149], a[36:37], v[56:59]// 000000007F88: D3E10038 1CE24994
	v_mfma_f32_16x16x16_bf16 v[56:59], a[150:151], a[38:39], v[56:59]// 000000007F90: D3E10038 1CE24D96
	ds_read_b128 v[116:119], v12 offset:15232                  // 000000007F98: D9FE3B80 7400000C
	ds_write_b32 v11, v34 offset:128                           // 000000007FA0: D81A0080 0000220B
	v_mfma_f32_16x16x16_bf16 v[56:59], a[152:153], a[40:41], v[56:59]// 000000007FA8: D3E10038 1CE25198
	v_mfma_f32_16x16x16_bf16 v[56:59], a[154:155], a[42:43], v[56:59]// 000000007FB0: D3E10038 1CE2559A
	buffer_atomic_add_f32 v143, v8, s[32:35], 0 idxen offset:384// 000000007FB8: E1342180 80088F08
	v_mfma_f32_16x16x16_bf16 v[56:59], a[156:157], a[44:45], v[56:59]// 000000007FC0: D3E10038 1CE2599C
	ds_read_b128 v[120:123], v12 offset:15744                  // 000000007FC8: D9FE3D80 7800000C
	ds_write_b32 v11, v35 offset:1184                          // 000000007FD0: D81A04A0 0000230B
	v_mfma_f32_16x16x16_bf16 v[56:59], a[158:159], a[46:47], v[56:59]// 000000007FD8: D3E10038 1CE25D9E
	s_cmp_lt_i32 s73, 3                                        // 000000007FE0: BF048349
	s_cbranch_scc0 label_1089                                  // 000000007FE4: BF84000F
	s_cmp_eq_i32 s73, 1                                        // 000000007FE8: BF008149
	s_cbranch_scc1 label_107F                                  // 000000007FEC: BF850003
	s_cmp_eq_i32 s73, 2                                        // 000000007FF0: BF008249
	s_cbranch_scc1 label_1084                                  // 000000007FF4: BF850006
	s_branch label_1089                                        // 000000007FF8: BF82000A

0000000000007ffc <label_107F>:
	v_mov_b32_e32 v52, v151                                    // 000000007FFC: 7E680397
	v_mov_b32_e32 v53, v151                                    // 000000008000: 7E6A0397
	v_mov_b32_e32 v54, v151                                    // 000000008004: 7E6C0397
	v_mov_b32_e32 v55, v151                                    // 000000008008: 7E6E0397
	s_branch label_1084                                        // 00000000800C: BF820000

0000000000008010 <label_1084>:
	v_mov_b32_e32 v56, v151                                    // 000000008010: 7E700397
	v_mov_b32_e32 v57, v151                                    // 000000008014: 7E720397
	v_mov_b32_e32 v58, v151                                    // 000000008018: 7E740397
	v_mov_b32_e32 v59, v151                                    // 00000000801C: 7E760397
	s_branch label_1089                                        // 000000008020: BF820000

0000000000008024 <label_1089>:
	s_waitcnt lgkmcnt(8)                                       // 000000008024: BF8CC87F
	s_barrier                                                  // 000000008028: BF8A0000
	v_mfma_f32_16x16x16_bf16 v[72:75], v[92:93], a[96:97], 0   // 00000000802C: D3E10048 1202C15C
	v_fma_f32 v48, v48, s57, -v124                             // 000000008034: D1CB0030 85F07330
	v_fma_f32 v49, v49, s57, -v125                             // 00000000803C: D1CB0031 85F47331
	v_fma_f32 v50, v50, s57, -v126                             // 000000008044: D1CB0032 85F87332
	v_mfma_f32_16x16x16_bf16 v[72:75], v[94:95], a[98:99], v[72:75]// 00000000804C: D3E10048 1522C55E
	ds_read_b128 a[144:147], v12 offset:4352                   // 000000008054: DBFE1100 9000000C
	ds_read_b128 a[148:151], v12 offset:4864                   // 00000000805C: DBFE1300 9400000C
	v_mfma_f32_16x16x16_bf16 v[72:75], v[96:97], a[100:101], v[72:75]// 000000008064: D3E10048 1522C960
	v_fma_f32 v51, v51, s57, -v127                             // 00000000806C: D1CB0033 85FC7333
	v_fma_f32 v52, v52, s57, -v124                             // 000000008074: D1CB0034 85F07334
	v_fma_f32 v53, v53, s57, -v125                             // 00000000807C: D1CB0035 85F47335
	v_mfma_f32_16x16x16_bf16 v[72:75], v[98:99], a[102:103], v[72:75]// 000000008084: D3E10048 1522CD62
	v_fma_f32 v54, v54, s57, -v126                             // 00000000808C: D1CB0036 85F87336
	v_fma_f32 v55, v55, s57, -v127                             // 000000008094: D1CB0037 85FC7337
	v_fma_f32 v56, v56, s57, -v124                             // 00000000809C: D1CB0038 85F07338
	v_mfma_f32_16x16x16_bf16 v[72:75], v[100:101], a[104:105], v[72:75]// 0000000080A4: D3E10048 1522D164
	v_fma_f32 v57, v57, s57, -v125                             // 0000000080AC: D1CB0039 85F47339
	v_fma_f32 v58, v58, s57, -v126                             // 0000000080B4: D1CB003A 85F8733A
	v_fma_f32 v59, v59, s57, -v127                             // 0000000080BC: D1CB003B 85FC733B
	v_mfma_f32_16x16x16_bf16 v[72:75], v[102:103], a[106:107], v[72:75]// 0000000080C4: D3E10048 1522D566
	ds_read_b128 a[152:155], v12 offset:6528                   // 0000000080CC: DBFE1980 9800000C
	ds_read_b128 a[156:159], v12 offset:7040                   // 0000000080D4: DBFE1B80 9C00000C
	v_mfma_f32_16x16x16_bf16 v[72:75], v[104:105], a[108:109], v[72:75]// 0000000080DC: D3E10048 1522D968
	v_exp_f32_e32 v48, v48                                     // 0000000080E4: 7E604130
	v_mfma_f32_16x16x16_bf16 v[72:75], v[106:107], a[110:111], v[72:75]// 0000000080E8: D3E10048 1522DD6A
	v_exp_f32_e32 v49, v49                                     // 0000000080F0: 7E624131
	v_mfma_f32_16x16x16_bf16 v[76:79], v[92:93], a[112:113], 0 // 0000000080F4: D3E1004C 1202E15C
	v_exp_f32_e32 v50, v50                                     // 0000000080FC: 7E644132
	v_mfma_f32_16x16x16_bf16 v[76:79], v[94:95], a[114:115], v[76:79]// 000000008100: D3E1004C 1532E55E
	ds_read_b64 v[136:137], v19 offset:24320                   // 000000008108: D8EC5F00 88000013
	ds_read_b64 v[138:139], v19 offset:26368                   // 000000008110: D8EC6700 8A000013
	v_mfma_f32_16x16x16_bf16 v[76:79], v[96:97], a[116:117], v[76:79]// 000000008118: D3E1004C 1532E960
	v_exp_f32_e32 v51, v51                                     // 000000008120: 7E664133
	v_mfma_f32_16x16x16_bf16 v[76:79], v[98:99], a[118:119], v[76:79]// 000000008124: D3E1004C 1532ED62
	ds_read_b64 v[140:141], v19 offset:28416                   // 00000000812C: D8EC6F00 8C000013
	ds_read_b64 v[142:143], v19 offset:30464                   // 000000008134: D8EC7700 8E000013
	v_mfma_f32_16x16x16_bf16 v[76:79], v[100:101], a[120:121], v[76:79]// 00000000813C: D3E1004C 1532F164
	v_exp_f32_e32 v52, v52                                     // 000000008144: 7E684134
	v_mfma_f32_16x16x16_bf16 v[76:79], v[102:103], a[122:123], v[76:79]// 000000008148: D3E1004C 1532F566
	v_exp_f32_e32 v53, v53                                     // 000000008150: 7E6A4135
	v_mfma_f32_16x16x16_bf16 v[76:79], v[104:105], a[124:125], v[76:79]// 000000008154: D3E1004C 1532F968
	v_exp_f32_e32 v54, v54                                     // 00000000815C: 7E6C4136
	v_mfma_f32_16x16x16_bf16 v[76:79], v[106:107], a[126:127], v[76:79]// 000000008160: D3E1004C 1532FD6A
	v_exp_f32_e32 v55, v55                                     // 000000008168: 7E6E4137
	v_mfma_f32_16x16x16_bf16 v[80:83], v[92:93], a[128:129], 0 // 00000000816C: D3E10050 1203015C
	v_exp_f32_e32 v56, v56                                     // 000000008174: 7E704138
	v_mfma_f32_16x16x16_bf16 v[80:83], v[94:95], a[130:131], v[80:83]// 000000008178: D3E10050 1543055E
	v_exp_f32_e32 v57, v57                                     // 000000008180: 7E724139
	v_mfma_f32_16x16x16_bf16 v[80:83], v[96:97], a[132:133], v[80:83]// 000000008184: D3E10050 15430960
	v_exp_f32_e32 v58, v58                                     // 00000000818C: 7E74413A
	v_mfma_f32_16x16x16_bf16 v[80:83], v[98:99], a[134:135], v[80:83]// 000000008190: D3E10050 15430D62
	v_exp_f32_e32 v59, v59                                     // 000000008198: 7E76413B
	v_mfma_f32_16x16x16_bf16 v[80:83], v[100:101], a[136:137], v[80:83]// 00000000819C: D3E10050 15431164
	v_cmp_u_f32_e64 s[74:75], v48, v48                         // 0000000081A4: D048004A 00026130
	v_add3_u32 v248, v48, v251, 1                              // 0000000081AC: D1FF00F8 0207F730
	v_cndmask_b32_e64 v28, v248, v250, s[74:75]                // 0000000081B4: D100001C 012BF5F8
	v_cmp_u_f32_e64 s[74:75], v49, v49                         // 0000000081BC: D048004A 00026331
	v_add3_u32 v248, v49, v251, 1                              // 0000000081C4: D1FF00F8 0207F731
	v_cndmask_b32_e64 v29, v248, v250, s[74:75]                // 0000000081CC: D100001D 012BF5F8
	v_perm_b32 v144, v29, v28, s64                             // 0000000081D4: D1ED0090 0102391D
	v_cmp_u_f32_e64 s[74:75], v50, v50                         // 0000000081DC: D048004A 00026532
	v_add3_u32 v248, v50, v251, 1                              // 0000000081E4: D1FF00F8 0207F732
	v_cndmask_b32_e64 v28, v248, v250, s[74:75]                // 0000000081EC: D100001C 012BF5F8
	v_cmp_u_f32_e64 s[74:75], v51, v51                         // 0000000081F4: D048004A 00026733
	v_add3_u32 v248, v51, v251, 1                              // 0000000081FC: D1FF00F8 0207F733
	v_cndmask_b32_e64 v29, v248, v250, s[74:75]                // 000000008204: D100001D 012BF5F8
	v_perm_b32 v145, v29, v28, s64                             // 00000000820C: D1ED0091 0102391D
	v_cmp_u_f32_e64 s[74:75], v52, v52                         // 000000008214: D048004A 00026934
	v_add3_u32 v248, v52, v251, 1                              // 00000000821C: D1FF00F8 0207F734
	v_cndmask_b32_e64 v28, v248, v250, s[74:75]                // 000000008224: D100001C 012BF5F8
	v_cmp_u_f32_e64 s[74:75], v53, v53                         // 00000000822C: D048004A 00026B35
	v_add3_u32 v248, v53, v251, 1                              // 000000008234: D1FF00F8 0207F735
	v_cndmask_b32_e64 v29, v248, v250, s[74:75]                // 00000000823C: D100001D 012BF5F8
	v_perm_b32 v146, v29, v28, s64                             // 000000008244: D1ED0092 0102391D
	v_mfma_f32_16x16x16_bf16 v[80:83], v[102:103], a[138:139], v[80:83]// 00000000824C: D3E10050 15431566
	v_cmp_u_f32_e64 s[74:75], v54, v54                         // 000000008254: D048004A 00026D36
	v_add3_u32 v248, v54, v251, 1                              // 00000000825C: D1FF00F8 0207F736
	v_cndmask_b32_e64 v28, v248, v250, s[74:75]                // 000000008264: D100001C 012BF5F8
	v_cmp_u_f32_e64 s[74:75], v55, v55                         // 00000000826C: D048004A 00026F37
	v_add3_u32 v248, v55, v251, 1                              // 000000008274: D1FF00F8 0207F737
	v_cndmask_b32_e64 v29, v248, v250, s[74:75]                // 00000000827C: D100001D 012BF5F8
	v_perm_b32 v147, v29, v28, s64                             // 000000008284: D1ED0093 0102391D
	v_cmp_u_f32_e64 s[74:75], v56, v56                         // 00000000828C: D048004A 00027138
	v_add3_u32 v248, v56, v251, 1                              // 000000008294: D1FF00F8 0207F738
	v_cndmask_b32_e64 v28, v248, v250, s[74:75]                // 00000000829C: D100001C 012BF5F8
	v_cmp_u_f32_e64 s[74:75], v57, v57                         // 0000000082A4: D048004A 00027339
	v_add3_u32 v248, v57, v251, 1                              // 0000000082AC: D1FF00F8 0207F739
	v_cndmask_b32_e64 v29, v248, v250, s[74:75]                // 0000000082B4: D100001D 012BF5F8
	v_perm_b32 v148, v29, v28, s64                             // 0000000082BC: D1ED0094 0102391D
	v_cmp_u_f32_e64 s[74:75], v58, v58                         // 0000000082C4: D048004A 0002753A
	v_add3_u32 v248, v58, v251, 1                              // 0000000082CC: D1FF00F8 0207F73A
	v_cndmask_b32_e64 v28, v248, v250, s[74:75]                // 0000000082D4: D100001C 012BF5F8
	v_cmp_u_f32_e64 s[74:75], v59, v59                         // 0000000082DC: D048004A 0002773B
	v_add3_u32 v248, v59, v251, 1                              // 0000000082E4: D1FF00F8 0207F73B
	v_cndmask_b32_e64 v29, v248, v250, s[74:75]                // 0000000082EC: D100001D 012BF5F8
	v_perm_b32 v149, v29, v28, s64                             // 0000000082F4: D1ED0095 0102391D
	v_mfma_f32_16x16x16_bf16 v[80:83], v[104:105], a[140:141], v[80:83]// 0000000082FC: D3E10050 15431968
	s_add_u32 s32, s66, s32                                    // 000000008304: 80202042
	s_addc_u32 s33, 0, s33                                     // 000000008308: 82212180
	v_mfma_f32_16x16x16_bf16 v[80:83], v[106:107], a[142:143], v[80:83]// 00000000830C: D3E10050 15431D6A
	s_waitcnt lgkmcnt(0)                                       // 000000008314: BF8CC07F
	s_barrier                                                  // 000000008318: BF8A0000
	v_mfma_f32_16x16x16_bf16 v[152:155], v[108:109], v[144:145], v[152:155]// 00000000831C: D3E10098 0663216C
	v_subrev_f32_dpp v72, v150, v72 quad_perm:[0,0,0,0] row_mask:0xf bank_mask:0xf// 000000008324: 069090FA FF000096
	v_subrev_f32_dpp v73, v150, v73 quad_perm:[1,1,1,1] row_mask:0xf bank_mask:0xf// 00000000832C: 069292FA FF005596
	v_subrev_f32_dpp v74, v150, v74 quad_perm:[2,2,2,2] row_mask:0xf bank_mask:0xf// 000000008334: 069494FA FF00AA96
	v_mfma_f32_16x16x16_bf16 v[156:159], v[110:111], v[144:145], v[156:159]// 00000000833C: D3E1009C 0673216E
	v_subrev_f32_dpp v75, v150, v75 quad_perm:[3,3,3,3] row_mask:0xf bank_mask:0xf// 000000008344: 069696FA FF00FF96
	v_subrev_f32_dpp v76, v150, v76 quad_perm:[0,0,0,0] row_mask:0xf bank_mask:0xf// 00000000834C: 069898FA FF000096
	v_subrev_f32_dpp v77, v150, v77 quad_perm:[1,1,1,1] row_mask:0xf bank_mask:0xf// 000000008354: 069A9AFA FF005596
	v_mfma_f32_16x16x16_bf16 v[160:163], v[112:113], v[144:145], v[160:163]// 00000000835C: D3E100A0 06832170
	v_mul_f32_e32 v72, v48, v72                                // 000000008364: 0A909130
	v_mul_f32_e32 v73, v49, v73                                // 000000008368: 0A929331
	v_mul_f32_e32 v74, v50, v74                                // 00000000836C: 0A949532
	v_mfma_f32_16x16x16_bf16 v[164:167], v[114:115], v[144:145], v[164:167]// 000000008370: D3E100A4 06932172
	v_mul_f32_e32 v75, v51, v75                                // 000000008378: 0A969733
	v_mul_f32_e32 v76, v52, v76                                // 00000000837C: 0A989934
	v_mul_f32_e32 v77, v53, v77                                // 000000008380: 0A9A9B35
	v_mfma_f32_16x16x16_bf16 v[168:171], v[116:117], v[144:145], v[168:171]// 000000008384: D3E100A8 06A32174
	v_cmp_u_f32_e64 s[74:75], v72, v72                         // 00000000838C: D048004A 00029148
	v_add3_u32 v248, v72, v251, 1                              // 000000008394: D1FF00F8 0207F748
	v_cndmask_b32_e64 v28, v248, v250, s[74:75]                // 00000000839C: D100001C 012BF5F8
	v_cmp_u_f32_e64 s[74:75], v73, v73                         // 0000000083A4: D048004A 00029349
	v_add3_u32 v248, v73, v251, 1                              // 0000000083AC: D1FF00F8 0207F749
	v_cndmask_b32_e64 v29, v248, v250, s[74:75]                // 0000000083B4: D100001D 012BF5F8
	v_perm_b32 v72, v29, v28, s64                              // 0000000083BC: D1ED0048 0102391D
	v_cmp_u_f32_e64 s[74:75], v74, v74                         // 0000000083C4: D048004A 0002954A
	v_add3_u32 v248, v74, v251, 1                              // 0000000083CC: D1FF00F8 0207F74A
	v_cndmask_b32_e64 v28, v248, v250, s[74:75]                // 0000000083D4: D100001C 012BF5F8
	v_cmp_u_f32_e64 s[74:75], v75, v75                         // 0000000083DC: D048004A 0002974B
	v_add3_u32 v248, v75, v251, 1                              // 0000000083E4: D1FF00F8 0207F74B
	v_cndmask_b32_e64 v29, v248, v250, s[74:75]                // 0000000083EC: D100001D 012BF5F8
	v_perm_b32 v73, v29, v28, s64                              // 0000000083F4: D1ED0049 0102391D
	v_cmp_u_f32_e64 s[74:75], v76, v76                         // 0000000083FC: D048004A 0002994C
	v_add3_u32 v248, v76, v251, 1                              // 000000008404: D1FF00F8 0207F74C
	v_cndmask_b32_e64 v28, v248, v250, s[74:75]                // 00000000840C: D100001C 012BF5F8
	v_cmp_u_f32_e64 s[74:75], v77, v77                         // 000000008414: D048004A 00029B4D
	v_add3_u32 v248, v77, v251, 1                              // 00000000841C: D1FF00F8 0207F74D
	v_cndmask_b32_e64 v29, v248, v250, s[74:75]                // 000000008424: D100001D 012BF5F8
	v_perm_b32 v74, v29, v28, s64                              // 00000000842C: D1ED004A 0102391D
	v_mfma_f32_16x16x16_bf16 v[172:175], v[118:119], v[144:145], v[172:175]// 000000008434: D3E100AC 06B32176
	v_mov_b32_dpp v16, v72 quad_perm:[1,0,3,2] row_mask:0xf bank_mask:0xf// 00000000843C: 7E2002FA FF00B148
	v_perm_b32 v48, v16, v72, v15                              // 000000008444: D1ED0030 043E9110
	v_mov_b32_dpp v16, v73 quad_perm:[1,0,3,2] row_mask:0xf bank_mask:0xf// 00000000844C: 7E2002FA FF00B149
	v_mfma_f32_16x16x16_bf16 v[176:179], v[120:121], v[144:145], v[176:179]// 000000008454: D3E100B0 06C32178
	ds_write_b32 v18, v48 offset:17408                         // 00000000845C: D81A4400 00003012
	v_mfma_f32_16x16x16_bf16 v[180:183], v[122:123], v[144:145], v[180:183]// 000000008464: D3E100B4 06D3217A
	v_perm_b32 v49, v16, v73, v15                              // 00000000846C: D1ED0031 043E9310
	v_mov_b32_dpp v16, v74 quad_perm:[1,0,3,2] row_mask:0xf bank_mask:0xf// 000000008474: 7E2002FA FF00B14A
	v_perm_b32 v50, v16, v74, v15                              // 00000000847C: D1ED0032 043E9510
	v_mfma_f32_16x16x16_bf16 v[184:187], v[108:109], v[146:147], v[184:187]// 000000008484: D3E100B8 06E3256C
	ds_write_b32 v18, v49 offset:17952                         // 00000000848C: D81A4620 00003112
	v_mfma_f32_16x16x16_bf16 v[188:191], v[110:111], v[146:147], v[188:191]// 000000008494: D3E100BC 06F3256E
	v_subrev_f32_dpp v78, v150, v78 quad_perm:[2,2,2,2] row_mask:0xf bank_mask:0xf// 00000000849C: 069C9CFA FF00AA96
	v_subrev_f32_dpp v79, v150, v79 quad_perm:[3,3,3,3] row_mask:0xf bank_mask:0xf// 0000000084A4: 069E9EFA FF00FF96
	v_subrev_f32_dpp v80, v150, v80 quad_perm:[0,0,0,0] row_mask:0xf bank_mask:0xf// 0000000084AC: 06A0A0FA FF000096
	v_mfma_f32_16x16x16_bf16 v[192:195], v[112:113], v[146:147], v[192:195]// 0000000084B4: D3E100C0 07032570
	ds_write_b32 v18, v50 offset:19712                         // 0000000084BC: D81A4D00 00003212
	v_mfma_f32_16x16x16_bf16 v[196:199], v[114:115], v[146:147], v[196:199]// 0000000084C4: D3E100C4 07132572
	v_subrev_f32_dpp v81, v150, v81 quad_perm:[1,1,1,1] row_mask:0xf bank_mask:0xf// 0000000084CC: 06A2A2FA FF005596
	v_subrev_f32_dpp v82, v150, v82 quad_perm:[2,2,2,2] row_mask:0xf bank_mask:0xf// 0000000084D4: 06A4A4FA FF00AA96
	v_subrev_f32_dpp v83, v150, v83 quad_perm:[3,3,3,3] row_mask:0xf bank_mask:0xf// 0000000084DC: 06A6A6FA FF00FF96
	v_mfma_f32_16x16x16_bf16 v[200:203], v[116:117], v[146:147], v[200:203]// 0000000084E4: D3E100C8 07232574
	v_mul_f32_e32 v78, v54, v78                                // 0000000084EC: 0A9C9D36
	v_mul_f32_e32 v79, v55, v79                                // 0000000084F0: 0A9E9F37
	v_mul_f32_e32 v80, v56, v80                                // 0000000084F4: 0AA0A138
	v_mfma_f32_16x16x16_bf16 v[204:207], v[118:119], v[146:147], v[204:207]// 0000000084F8: D3E100CC 07332576
	v_mul_f32_e32 v81, v57, v81                                // 000000008500: 0AA2A339
	v_mul_f32_e32 v82, v58, v82                                // 000000008504: 0AA4A53A
	v_mul_f32_e32 v83, v59, v83                                // 000000008508: 0AA6A73B
	v_mfma_f32_16x16x16_bf16 v[208:211], v[120:121], v[146:147], v[208:211]// 00000000850C: D3E100D0 07432578
	v_cmp_u_f32_e64 s[74:75], v78, v78                         // 000000008514: D048004A 00029D4E
	v_add3_u32 v248, v78, v251, 1                              // 00000000851C: D1FF00F8 0207F74E
	v_cndmask_b32_e64 v28, v248, v250, s[74:75]                // 000000008524: D100001C 012BF5F8
	v_cmp_u_f32_e64 s[74:75], v79, v79                         // 00000000852C: D048004A 00029F4F
	v_add3_u32 v248, v79, v251, 1                              // 000000008534: D1FF00F8 0207F74F
	v_cndmask_b32_e64 v29, v248, v250, s[74:75]                // 00000000853C: D100001D 012BF5F8
	v_perm_b32 v75, v29, v28, s64                              // 000000008544: D1ED004B 0102391D
	v_cmp_u_f32_e64 s[74:75], v80, v80                         // 00000000854C: D048004A 0002A150
	v_add3_u32 v248, v80, v251, 1                              // 000000008554: D1FF00F8 0207F750
	v_cndmask_b32_e64 v28, v248, v250, s[74:75]                // 00000000855C: D100001C 012BF5F8
	v_cmp_u_f32_e64 s[74:75], v81, v81                         // 000000008564: D048004A 0002A351
	v_add3_u32 v248, v81, v251, 1                              // 00000000856C: D1FF00F8 0207F751
	v_cndmask_b32_e64 v29, v248, v250, s[74:75]                // 000000008574: D100001D 012BF5F8
	v_perm_b32 v76, v29, v28, s64                              // 00000000857C: D1ED004C 0102391D
	v_cmp_u_f32_e64 s[74:75], v82, v82                         // 000000008584: D048004A 0002A552
	v_add3_u32 v248, v82, v251, 1                              // 00000000858C: D1FF00F8 0207F752
	v_cndmask_b32_e64 v28, v248, v250, s[74:75]                // 000000008594: D100001C 012BF5F8
	v_cmp_u_f32_e64 s[74:75], v83, v83                         // 00000000859C: D048004A 0002A753
	v_add3_u32 v248, v83, v251, 1                              // 0000000085A4: D1FF00F8 0207F753
	v_cndmask_b32_e64 v29, v248, v250, s[74:75]                // 0000000085AC: D100001D 012BF5F8
	v_perm_b32 v77, v29, v28, s64                              // 0000000085B4: D1ED004D 0102391D
	v_mfma_f32_16x16x16_bf16 v[212:215], v[122:123], v[146:147], v[212:215]// 0000000085BC: D3E100D4 0753257A
	v_mov_b32_dpp v16, v75 quad_perm:[1,0,3,2] row_mask:0xf bank_mask:0xf// 0000000085C4: 7E2002FA FF00B14B
	v_perm_b32 v51, v16, v75, v15                              // 0000000085CC: D1ED0033 043E9710
	v_mov_b32_dpp v16, v76 quad_perm:[1,0,3,2] row_mask:0xf bank_mask:0xf// 0000000085D4: 7E2002FA FF00B14C
	v_mfma_f32_16x16x16_bf16 v[216:219], v[108:109], v[148:149], v[216:219]// 0000000085DC: D3E100D8 0763296C
	ds_write_b32 v18, v51 offset:20256                         // 0000000085E4: D81A4F20 00003312
	v_mfma_f32_16x16x16_bf16 v[220:223], v[110:111], v[148:149], v[220:223]// 0000000085EC: D3E100DC 0773296E
	v_perm_b32 v52, v16, v76, v15                              // 0000000085F4: D1ED0034 043E9910
	v_mov_b32_dpp v16, v77 quad_perm:[1,0,3,2] row_mask:0xf bank_mask:0xf// 0000000085FC: 7E2002FA FF00B14D
	v_perm_b32 v53, v16, v77, v15                              // 000000008604: D1ED0035 043E9B10
	v_mfma_f32_16x16x16_bf16 v[224:227], v[112:113], v[148:149], v[224:227]// 00000000860C: D3E100E0 07832970
	ds_write_b32 v18, v52 offset:22016                         // 000000008614: D81A5600 00003412
	ds_write_b32 v18, v53 offset:22560                         // 00000000861C: D81A5820 00003512
	v_mfma_f32_16x16x16_bf16 v[228:231], v[114:115], v[148:149], v[228:231]// 000000008624: D3E100E4 07932972
	v_mfma_f32_16x16x16_bf16 v[232:235], v[116:117], v[148:149], v[232:235]// 00000000862C: D3E100E8 07A32974
	ds_write_b32 v13, v84 offset:4352                          // 000000008634: D81A1100 0000540D
	ds_write_b32 v13, v85 offset:5408                          // 00000000863C: D81A1520 0000550D
	v_mfma_f32_16x16x16_bf16 v[236:239], v[118:119], v[148:149], v[236:239]// 000000008644: D3E100EC 07B32976
	v_mfma_f32_16x16x16_bf16 v[240:243], v[120:121], v[148:149], v[240:243]// 00000000864C: D3E100F0 07C32978
	ds_write_b32 v13, v86 offset:4480                          // 000000008654: D81A1180 0000560D
	ds_write_b32 v13, v87 offset:5536                          // 00000000865C: D81A15A0 0000570D
	v_mfma_f32_16x16x16_bf16 v[244:247], v[122:123], v[148:149], v[244:247]// 000000008664: D3E100F4 07D3297A
	s_nop 0                                                    // 00000000866C: BF800000
	s_nop 0                                                    // 000000008670: BF800000
	s_nop 0                                                    // 000000008674: BF800000
	s_barrier                                                  // 000000008678: BF8A0000
	v_mfma_f32_16x16x16_bf16 a[160:163], a[144:145], v[72:73], a[160:163]// 00000000867C: D3E180A0 0E829190
	ds_read_b32 v124, v21 offset:50688                         // 000000008684: D86CC600 7C000015
	ds_read_b32 v150, v21 offset:50944                         // 00000000868C: D86CC700 96000015
	v_mfma_f32_16x16x16_bf16 a[164:167], a[146:147], v[72:73], a[164:167]// 000000008694: D3E180A4 0E929192
	buffer_atomic_add_f32 v136, v7, s[32:35], 0 idxen          // 00000000869C: E1342000 80088807
	v_mfma_f32_16x16x16_bf16 a[168:171], a[148:149], v[72:73], a[168:171]// 0000000086A4: D3E180A8 0EA29194
	s_waitcnt lgkmcnt(6)                                       // 0000000086AC: BF8CC67F
	s_barrier                                                  // 0000000086B0: BF8A0000
	v_mfma_f32_16x16x16_bf16 a[172:175], a[150:151], v[72:73], a[172:175]// 0000000086B4: D3E180AC 0EB29196
	v_mfma_f32_16x16x16_bf16 a[176:179], a[152:153], v[72:73], a[176:179]// 0000000086BC: D3E180B0 0EC29198
	ds_read_b128 v[48:51], v17 offset:17408                    // 0000000086C4: D9FE4400 30000011
	v_mfma_f32_16x16x16_bf16 a[180:183], a[154:155], v[72:73], a[180:183]// 0000000086CC: D3E180B4 0ED2919A
	v_mfma_f32_16x16x16_bf16 a[184:187], a[156:157], v[72:73], a[184:187]// 0000000086D4: D3E180B8 0EE2919C
	ds_read_b128 v[52:55], v17 offset:18560                    // 0000000086DC: D9FE4880 34000011
	v_mfma_f32_16x16x16_bf16 a[188:191], a[158:159], v[72:73], a[188:191]// 0000000086E4: D3E180BC 0EF2919E
	buffer_atomic_add_f32 v137, v8, s[32:35], 0 idxen          // 0000000086EC: E1342000 80088908
	v_mfma_f32_16x16x16_bf16 a[192:195], a[144:145], v[74:75], a[192:195]// 0000000086F4: D3E180C0 0F029590
	ds_read_b128 v[56:59], v17 offset:19712                    // 0000000086FC: D9FE4D00 38000011
	v_mfma_f32_16x16x16_bf16 a[196:199], a[146:147], v[74:75], a[196:199]// 000000008704: D3E180C4 0F129592
	v_mfma_f32_16x16x16_bf16 a[200:203], a[148:149], v[74:75], a[200:203]// 00000000870C: D3E180C8 0F229594
	ds_read_b128 v[60:63], v17 offset:20864                    // 000000008714: D9FE5180 3C000011
	v_mfma_f32_16x16x16_bf16 a[204:207], a[150:151], v[74:75], a[204:207]// 00000000871C: D3E180CC 0F329596
	v_mfma_f32_16x16x16_bf16 a[208:211], a[152:153], v[74:75], a[208:211]// 000000008724: D3E180D0 0F429598
	ds_read_b128 v[64:67], v17 offset:22016                    // 00000000872C: D9FE5600 40000011
	v_mfma_f32_16x16x16_bf16 a[212:215], a[154:155], v[74:75], a[212:215]// 000000008734: D3E180D4 0F52959A
	buffer_atomic_add_f32 v138, v7, s[32:35], 0 idxen offset:128// 00000000873C: E1342080 80088A07
	v_mfma_f32_16x16x16_bf16 a[216:219], a[156:157], v[74:75], a[216:219]// 000000008744: D3E180D8 0F62959C
	ds_read_b128 v[68:71], v17 offset:23168                    // 00000000874C: D9FE5A80 44000011
	v_mfma_f32_16x16x16_bf16 a[220:223], a[158:159], v[74:75], a[220:223]// 000000008754: D3E180DC 0F72959E
	v_mfma_f32_16x16x16_bf16 a[224:227], a[144:145], v[76:77], a[224:227]// 00000000875C: D3E180E0 0F829990
	ds_write_b32 v13, v88 offset:13056                         // 000000008764: D81A3300 0000580D
	v_mfma_f32_16x16x16_bf16 a[228:231], a[146:147], v[76:77], a[228:231]// 00000000876C: D3E180E4 0F929992
	v_mfma_f32_16x16x16_bf16 a[232:235], a[148:149], v[76:77], a[232:235]// 000000008774: D3E180E8 0FA29994
	ds_write_b32 v13, v89 offset:14112                         // 00000000877C: D81A3720 0000590D
	v_mfma_f32_16x16x16_bf16 a[236:239], a[150:151], v[76:77], a[236:239]// 000000008784: D3E180EC 0FB29996
	buffer_atomic_add_f32 v139, v8, s[32:35], 0 idxen offset:128// 00000000878C: E1342080 80088B08
	v_mfma_f32_16x16x16_bf16 a[240:243], a[152:153], v[76:77], a[240:243]// 000000008794: D3E180F0 0FC29998
	ds_write_b32 v13, v90 offset:13184                         // 00000000879C: D81A3380 00005A0D
	v_mfma_f32_16x16x16_bf16 a[244:247], a[154:155], v[76:77], a[244:247]// 0000000087A4: D3E180F4 0FD2999A
	v_mfma_f32_16x16x16_bf16 a[248:251], a[156:157], v[76:77], a[248:251]// 0000000087AC: D3E180F8 0FE2999C
	ds_write_b32 v13, v91 offset:14240                         // 0000000087B4: D81A37A0 00005B0D
	v_mfma_f32_16x16x16_bf16 a[252:255], a[158:159], v[76:77], a[252:255]// 0000000087BC: D3E180FC 0FF2999E
	s_waitcnt vmcnt(8) lgkmcnt(4)                              // 0000000087C4: BF8C0478
	s_barrier                                                  // 0000000087C8: BF8A0000
	v_mfma_f32_16x16x16_bf16 v[128:131], v[48:49], a[48:49], 0 // 0000000087CC: D3E10080 12026130
	ds_read_b128 a[144:147], v10                               // 0000000087D4: DBFE0000 9000000A
	buffer_load_dword v32, v1, s[8:11], 0 idxen                // 0000000087DC: E0502000 80022001
	v_mfma_f32_16x16x16_bf16 v[128:131], v[50:51], a[52:53], v[128:131]// 0000000087E4: D3E10080 16026932
	v_mul_f32_e32 v124, s49, v124                              // 0000000087EC: 0AF8F831
	s_nop 0                                                    // 0000000087F0: BF800000
	v_mfma_f32_16x16x16_bf16 v[128:131], v[52:53], a[56:57], v[128:131]// 0000000087F4: D3E10080 16027134
	ds_read_b128 a[148:151], v10 offset:512                    // 0000000087FC: DBFE0200 9400000A
	buffer_load_dword v33, v2, s[8:11], 0 idxen                // 000000008804: E0502000 80022102
	v_mfma_f32_16x16x16_bf16 v[128:131], v[54:55], a[60:61], v[128:131]// 00000000880C: D3E10080 16027936
	v_mfma_f32_16x16x16_bf16 v[128:131], v[56:57], a[64:65], v[128:131]// 000000008814: D3E10080 16028138
	ds_read_b128 a[152:155], v10 offset:2176                   // 00000000881C: DBFE0880 9800000A
	buffer_load_dword v34, v3, s[8:11], 0 idxen                // 000000008824: E0502000 80022203
	v_mfma_f32_16x16x16_bf16 v[128:131], v[58:59], a[68:69], v[128:131]// 00000000882C: D3E10080 1602893A
	v_perm_b32 v84, v37, v36, s63                              // 000000008834: D1ED0054 00FE4925
	v_perm_b32 v85, v37, v36, s64                              // 00000000883C: D1ED0055 01024925
	v_mfma_f32_16x16x16_bf16 v[128:131], v[60:61], a[72:73], v[128:131]// 000000008844: D3E10080 1602913C
	ds_read_b128 a[156:159], v10 offset:2688                   // 00000000884C: DBFE0A80 9C00000A
	buffer_load_dword v35, v4, s[8:11], 0 idxen                // 000000008854: E0502000 80022304
	v_mfma_f32_16x16x16_bf16 v[128:131], v[62:63], a[76:77], v[128:131]// 00000000885C: D3E10080 1602993E
	v_perm_b32 v86, v39, v38, s63                              // 000000008864: D1ED0056 00FE4D27
	v_perm_b32 v87, v39, v38, s64                              // 00000000886C: D1ED0057 01024D27
	v_mfma_f32_16x16x16_bf16 v[128:131], v[64:65], a[80:81], v[128:131]// 000000008874: D3E10080 1602A140
	ds_read_b128 v[92:95], v10 offset:8704                     // 00000000887C: D9FE2200 5C00000A
	buffer_load_dword v40, v1, s[20:23], 0 idxen               // 000000008884: E0502000 80052801
	v_mfma_f32_16x16x16_bf16 v[128:131], v[66:67], a[84:85], v[128:131]// 00000000888C: D3E10080 1602A942
	v_perm_b32 v88, v45, v44, s63                              // 000000008894: D1ED0058 00FE592D
	v_perm_b32 v89, v45, v44, s64                              // 00000000889C: D1ED0059 0102592D
	v_mfma_f32_16x16x16_bf16 v[128:131], v[68:69], a[88:89], v[128:131]// 0000000088A4: D3E10080 1602B144
	ds_read_b128 v[96:99], v10 offset:9216                     // 0000000088AC: D9FE2400 6000000A
	buffer_load_dword v41, v2, s[20:23], 0 idxen               // 0000000088B4: E0502000 80052902
	v_mfma_f32_16x16x16_bf16 v[128:131], v[70:71], a[92:93], v[128:131]// 0000000088BC: D3E10080 1602B946
	v_perm_b32 v90, v47, v46, s63                              // 0000000088C4: D1ED005A 00FE5D2F
	v_perm_b32 v91, v47, v46, s64                              // 0000000088CC: D1ED005B 01025D2F
	v_mfma_f32_16x16x16_bf16 v[132:135], v[48:49], a[50:51], 0 // 0000000088D4: D3E10084 12026530
	ds_read_b128 v[100:103], v10 offset:10880                  // 0000000088DC: D9FE2A80 6400000A
	buffer_load_dword v42, v3, s[20:23], 0 idxen               // 0000000088E4: E0502000 80052A03
	v_mfma_f32_16x16x16_bf16 v[132:135], v[50:51], a[54:55], v[132:135]// 0000000088EC: D3E10084 16126D32
	v_mov_b32_dpp v127, v124 quad_perm:[3,3,3,3] row_mask:0xf bank_mask:0xf// 0000000088F4: 7EFE02FA FF00FF7C
	v_mov_b32_dpp v126, v124 quad_perm:[2,2,2,2] row_mask:0xf bank_mask:0xf// 0000000088FC: 7EFC02FA FF00AA7C
	v_mfma_f32_16x16x16_bf16 v[132:135], v[52:53], a[58:59], v[132:135]// 000000008904: D3E10084 16127534
	ds_read_b128 v[104:107], v10 offset:11392                  // 00000000890C: D9FE2C80 6800000A
	buffer_load_dword v43, v4, s[20:23], 0 idxen               // 000000008914: E0502000 80052B04
	v_mfma_f32_16x16x16_bf16 v[132:135], v[54:55], a[62:63], v[132:135]// 00000000891C: D3E10084 16127D36
	v_mov_b32_dpp v125, v124 quad_perm:[1,1,1,1] row_mask:0xf bank_mask:0xf// 000000008924: 7EFA02FA FF00557C
	v_mov_b32_dpp v124, v124 quad_perm:[0,0,0,0] row_mask:0xf bank_mask:0xf// 00000000892C: 7EF802FA FF00007C
	s_add_u32 s60, 64, s59                                     // 000000008934: 803C3BC0
	v_mfma_f32_16x16x16_bf16 v[132:135], v[56:57], a[66:67], v[132:135]// 000000008938: D3E10084 16128538
	buffer_load_dword v9, s[24:27], 0 idxen lds                // 000000008940: E0512000 80060009
	v_mfma_f32_16x16x16_bf16 v[132:135], v[58:59], a[70:71], v[132:135]// 000000008948: D3E10084 16128D3A
	s_cmp_lt_u32 s60, s58                                      // 000000008950: BF0A3A3C
	s_cselect_b32 s68, s68, 0                                  // 000000008954: 85448044
	s_cselect_b32 s69, s69, 0                                  // 000000008958: 85458045
	v_mfma_f32_16x16x16_bf16 v[132:135], v[60:61], a[74:75], v[132:135]// 00000000895C: D3E10084 1612953C
	s_add_u32 s8, s68, s8                                      // 000000008964: 80080844
	s_addc_u32 s9, 0, s9                                       // 000000008968: 82090980
	v_mfma_f32_16x16x16_bf16 v[132:135], v[62:63], a[78:79], v[132:135]// 00000000896C: D3E10084 16129D3E
	s_add_u32 s20, s68, s20                                    // 000000008974: 80141444
	s_addc_u32 s21, 0, s21                                     // 000000008978: 82151580
	v_mfma_f32_16x16x16_bf16 v[132:135], v[64:65], a[82:83], v[132:135]// 00000000897C: D3E10084 1612A540
	s_mov_b32 m0, s77                                          // 000000008984: BEFC004D
	v_add_u32_e32 v9, s69, v9                                  // 000000008988: 68121245
	v_mfma_f32_16x16x16_bf16 v[132:135], v[66:67], a[86:87], v[132:135]// 00000000898C: D3E10084 1612AD42
	s_cmp_ge_u32 s59, 16                                       // 000000008994: BF09903B
	s_cselect_b32 s66, s67, s66                                // 000000008998: 85424243
	v_mfma_f32_16x16x16_bf16 v[132:135], v[68:69], a[90:91], v[132:135]// 00000000899C: D3E10084 1612B544
	s_addk_i32 s59, 0x10                                       // 0000000089A4: B73B0010
	s_nop 0                                                    // 0000000089A8: BF800000
	s_cmp_lt_i32 s59, s58                                      // 0000000089AC: BF043A3B
	v_mfma_f32_16x16x16_bf16 v[132:135], v[70:71], a[94:95], v[132:135]// 0000000089B0: D3E10084 1612BD46
	s_cbranch_scc0 label_0D3A                                  // 0000000089B8: BF84FA4B
	s_branch label_0D3D                                        // 0000000089BC: BF82FA4D

00000000000089c0 <label_12F0>:
	buffer_atomic_add_f32 v140, v7, s[32:35], 0 idxen offset:256// 0000000089C0: E1342100 80088C07
	buffer_atomic_add_f32 v141, v8, s[32:35], 0 idxen offset:256// 0000000089C8: E1342100 80088D08
	buffer_atomic_add_f32 v142, v7, s[32:35], 0 idxen offset:384// 0000000089D0: E1342180 80088E07
	buffer_atomic_add_f32 v143, v8, s[32:35], 0 idxen offset:384// 0000000089D8: E1342180 80088F08
	s_add_u32 s32, s66, s32                                    // 0000000089E0: 80202042
	s_addc_u32 s33, 0, s33                                     // 0000000089E4: 82212180
	v_lshrrev_b32_e32 v28, 5, v0                               // 0000000089E8: 20380085
	v_mul_i32_i24_e32 v25, 0x42, v28                           // 0000000089EC: 0C3238FF 00000042
	v_and_b32_e32 v28, 31, v0                                  // 0000000089F4: 2638009F
	v_mul_i32_i24_e32 v29, 2, v28                              // 0000000089F8: 0C3A3882
	v_add_u32_e32 v25, v29, v25                                // 0000000089FC: 6832331D
	s_mul_i32 s60, s47, 0x420                                  // 000000008A00: 923CFF2F 00000420
	v_add_u32_e32 v25, s60, v25                                // 000000008A08: 6832323C
	v_lshlrev_b32_e32 v25, 2, v25                              // 000000008A0C: 24323282
	v_mul_f32_e32 v128, s48, v128                              // 000000008A10: 0B010030
	v_mul_f32_e32 v129, s48, v129                              // 000000008A14: 0B030230
	v_mul_f32_e32 v130, s48, v130                              // 000000008A18: 0B050430
	v_mul_f32_e32 v131, s48, v131                              // 000000008A1C: 0B070630
	v_mul_f32_e32 v132, s48, v132                              // 000000008A20: 0B090830
	v_mul_f32_e32 v133, s48, v133                              // 000000008A24: 0B0B0A30
	v_mul_f32_e32 v134, s48, v134                              // 000000008A28: 0B0D0C30
	v_mul_f32_e32 v135, s48, v135                              // 000000008A2C: 0B0F0E30
	ds_write_b64 v20, v[128:129] offset:24320                  // 000000008A30: D89A5F00 00008014
	ds_write_b64 v20, v[130:131] offset:24832                  // 000000008A38: D89A6100 00008214
	ds_write_b64 v20, v[132:133] offset:25344                  // 000000008A40: D89A6300 00008414
	ds_write_b64 v20, v[134:135] offset:25856                  // 000000008A48: D89A6500 00008614
	s_waitcnt lgkmcnt(0)                                       // 000000008A50: BF8CC07F
	s_barrier                                                  // 000000008A54: BF8A0000
	ds_read_b64 v[136:137], v19 offset:24320                   // 000000008A58: D8EC5F00 88000013
	ds_read_b64 v[138:139], v19 offset:26368                   // 000000008A60: D8EC6700 8A000013
	ds_read_b64 v[140:141], v19 offset:28416                   // 000000008A68: D8EC6F00 8C000013
	ds_read_b64 v[142:143], v19 offset:30464                   // 000000008A70: D8EC7700 8E000013
	s_waitcnt lgkmcnt(0)                                       // 000000008A78: BF8CC07F
	s_barrier                                                  // 000000008A7C: BF8A0000
	buffer_atomic_add_f32 v136, v7, s[32:35], 0 idxen          // 000000008A80: E1342000 80088807
	buffer_atomic_add_f32 v137, v8, s[32:35], 0 idxen          // 000000008A88: E1342000 80088908
	buffer_atomic_add_f32 v138, v7, s[32:35], 0 idxen offset:128// 000000008A90: E1342080 80088A07
	buffer_atomic_add_f32 v139, v8, s[32:35], 0 idxen offset:128// 000000008A98: E1342080 80088B08
	buffer_atomic_add_f32 v140, v7, s[32:35], 0 idxen offset:256// 000000008AA0: E1342100 80088C07
	buffer_atomic_add_f32 v141, v8, s[32:35], 0 idxen offset:256// 000000008AA8: E1342100 80088D08
	buffer_atomic_add_f32 v142, v7, s[32:35], 0 idxen offset:384// 000000008AB0: E1342180 80088E07
	buffer_atomic_add_f32 v143, v8, s[32:35], 0 idxen offset:384// 000000008AB8: E1342180 80088F08
	v_lshrrev_b32_e32 v28, 4, v0                               // 000000008AC0: 20380084
	v_mul_i32_i24_e32 v24, 2, v28                              // 000000008AC4: 0C303882
	v_and_b32_e32 v28, 15, v0                                  // 000000008AC8: 2638008F
	v_mul_i32_i24_e32 v29, 0x42, v28                           // 000000008ACC: 0C3A38FF 00000042
	v_add_u32_e32 v24, v29, v24                                // 000000008AD4: 6830311D
	s_mul_i32 s60, s47, 0x420                                  // 000000008AD8: 923CFF2F 00000420
	v_add_u32_e32 v24, s60, v24                                // 000000008AE0: 6830303C
	v_lshlrev_b32_e32 v24, 2, v24                              // 000000008AE4: 24303082
	v_accvgpr_read_b32 v30, a160                               // 000000008AE8: D3D8401E 180001A0
	v_accvgpr_read_b32 v31, a161                               // 000000008AF0: D3D8401F 180001A1
	v_mul_f32_e32 v30, s48, v30                                // 000000008AF8: 0A3C3C30
	v_mul_f32_e32 v31, s48, v31                                // 000000008AFC: 0A3E3E30
	v_cmp_u_f32_e64 s[74:75], v30, v30                         // 000000008B00: D048004A 00023D1E
	v_bfe_u32 v248, v30, 16, 1                                 // 000000008B08: D1C800F8 0205211E
	v_add3_u32 v248, v30, v248, v251                           // 000000008B10: D1FF00F8 07EFF11E
	v_cndmask_b32_e64 v28, v248, v250, s[74:75]                // 000000008B18: D100001C 012BF5F8
	v_lshrrev_b32_e32 v28, 16, v28                             // 000000008B20: 20383890
	v_cmp_u_f32_e64 s[74:75], v31, v31                         // 000000008B24: D048004A 00023F1F
	v_bfe_u32 v248, v31, 16, 1                                 // 000000008B2C: D1C800F8 0205211F
	v_add3_u32 v248, v31, v248, v251                           // 000000008B34: D1FF00F8 07EFF11F
	v_cndmask_b32_e64 v29, v248, v250, s[74:75]                // 000000008B3C: D100001D 012BF5F8
	v_and_or_b32 v48, v29, v249, v28                           // 000000008B44: D2010030 0473F31D
	v_accvgpr_read_b32 v30, a162                               // 000000008B4C: D3D8401E 180001A2
	v_accvgpr_read_b32 v31, a163                               // 000000008B54: D3D8401F 180001A3
	v_mul_f32_e32 v30, s48, v30                                // 000000008B5C: 0A3C3C30
	v_mul_f32_e32 v31, s48, v31                                // 000000008B60: 0A3E3E30
	v_cmp_u_f32_e64 s[74:75], v30, v30                         // 000000008B64: D048004A 00023D1E
	v_bfe_u32 v248, v30, 16, 1                                 // 000000008B6C: D1C800F8 0205211E
	v_add3_u32 v248, v30, v248, v251                           // 000000008B74: D1FF00F8 07EFF11E
	v_cndmask_b32_e64 v28, v248, v250, s[74:75]                // 000000008B7C: D100001C 012BF5F8
	v_lshrrev_b32_e32 v28, 16, v28                             // 000000008B84: 20383890
	v_cmp_u_f32_e64 s[74:75], v31, v31                         // 000000008B88: D048004A 00023F1F
	v_bfe_u32 v248, v31, 16, 1                                 // 000000008B90: D1C800F8 0205211F
	v_add3_u32 v248, v31, v248, v251                           // 000000008B98: D1FF00F8 07EFF11F
	v_cndmask_b32_e64 v29, v248, v250, s[74:75]                // 000000008BA0: D100001D 012BF5F8
	v_and_or_b32 v49, v29, v249, v28                           // 000000008BA8: D2010031 0473F31D
	v_accvgpr_read_b32 v30, a164                               // 000000008BB0: D3D8401E 180001A4
	v_accvgpr_read_b32 v31, a165                               // 000000008BB8: D3D8401F 180001A5
	v_mul_f32_e32 v30, s48, v30                                // 000000008BC0: 0A3C3C30
	v_mul_f32_e32 v31, s48, v31                                // 000000008BC4: 0A3E3E30
	v_cmp_u_f32_e64 s[74:75], v30, v30                         // 000000008BC8: D048004A 00023D1E
	v_bfe_u32 v248, v30, 16, 1                                 // 000000008BD0: D1C800F8 0205211E
	v_add3_u32 v248, v30, v248, v251                           // 000000008BD8: D1FF00F8 07EFF11E
	v_cndmask_b32_e64 v28, v248, v250, s[74:75]                // 000000008BE0: D100001C 012BF5F8
	v_lshrrev_b32_e32 v28, 16, v28                             // 000000008BE8: 20383890
	v_cmp_u_f32_e64 s[74:75], v31, v31                         // 000000008BEC: D048004A 00023F1F
	v_bfe_u32 v248, v31, 16, 1                                 // 000000008BF4: D1C800F8 0205211F
	v_add3_u32 v248, v31, v248, v251                           // 000000008BFC: D1FF00F8 07EFF11F
	v_cndmask_b32_e64 v29, v248, v250, s[74:75]                // 000000008C04: D100001D 012BF5F8
	v_and_or_b32 v50, v29, v249, v28                           // 000000008C0C: D2010032 0473F31D
	v_accvgpr_read_b32 v30, a166                               // 000000008C14: D3D8401E 180001A6
	v_accvgpr_read_b32 v31, a167                               // 000000008C1C: D3D8401F 180001A7
	v_mul_f32_e32 v30, s48, v30                                // 000000008C24: 0A3C3C30
	v_mul_f32_e32 v31, s48, v31                                // 000000008C28: 0A3E3E30
	v_cmp_u_f32_e64 s[74:75], v30, v30                         // 000000008C2C: D048004A 00023D1E
	v_bfe_u32 v248, v30, 16, 1                                 // 000000008C34: D1C800F8 0205211E
	v_add3_u32 v248, v30, v248, v251                           // 000000008C3C: D1FF00F8 07EFF11E
	v_cndmask_b32_e64 v28, v248, v250, s[74:75]                // 000000008C44: D100001C 012BF5F8
	v_lshrrev_b32_e32 v28, 16, v28                             // 000000008C4C: 20383890
	v_cmp_u_f32_e64 s[74:75], v31, v31                         // 000000008C50: D048004A 00023F1F
	v_bfe_u32 v248, v31, 16, 1                                 // 000000008C58: D1C800F8 0205211F
	v_add3_u32 v248, v31, v248, v251                           // 000000008C60: D1FF00F8 07EFF11F
	v_cndmask_b32_e64 v29, v248, v250, s[74:75]                // 000000008C68: D100001D 012BF5F8
	v_and_or_b32 v51, v29, v249, v28                           // 000000008C70: D2010033 0473F31D
	v_accvgpr_read_b32 v30, a168                               // 000000008C78: D3D8401E 180001A8
	v_accvgpr_read_b32 v31, a169                               // 000000008C80: D3D8401F 180001A9
	v_mul_f32_e32 v30, s48, v30                                // 000000008C88: 0A3C3C30
	v_mul_f32_e32 v31, s48, v31                                // 000000008C8C: 0A3E3E30
	v_cmp_u_f32_e64 s[74:75], v30, v30                         // 000000008C90: D048004A 00023D1E
	v_bfe_u32 v248, v30, 16, 1                                 // 000000008C98: D1C800F8 0205211E
	v_add3_u32 v248, v30, v248, v251                           // 000000008CA0: D1FF00F8 07EFF11E
	v_cndmask_b32_e64 v28, v248, v250, s[74:75]                // 000000008CA8: D100001C 012BF5F8
	v_lshrrev_b32_e32 v28, 16, v28                             // 000000008CB0: 20383890
	v_cmp_u_f32_e64 s[74:75], v31, v31                         // 000000008CB4: D048004A 00023F1F
	v_bfe_u32 v248, v31, 16, 1                                 // 000000008CBC: D1C800F8 0205211F
	v_add3_u32 v248, v31, v248, v251                           // 000000008CC4: D1FF00F8 07EFF11F
	v_cndmask_b32_e64 v29, v248, v250, s[74:75]                // 000000008CCC: D100001D 012BF5F8
	v_and_or_b32 v52, v29, v249, v28                           // 000000008CD4: D2010034 0473F31D
	v_accvgpr_read_b32 v30, a170                               // 000000008CDC: D3D8401E 180001AA
	v_accvgpr_read_b32 v31, a171                               // 000000008CE4: D3D8401F 180001AB
	v_mul_f32_e32 v30, s48, v30                                // 000000008CEC: 0A3C3C30
	v_mul_f32_e32 v31, s48, v31                                // 000000008CF0: 0A3E3E30
	v_cmp_u_f32_e64 s[74:75], v30, v30                         // 000000008CF4: D048004A 00023D1E
	v_bfe_u32 v248, v30, 16, 1                                 // 000000008CFC: D1C800F8 0205211E
	v_add3_u32 v248, v30, v248, v251                           // 000000008D04: D1FF00F8 07EFF11E
	v_cndmask_b32_e64 v28, v248, v250, s[74:75]                // 000000008D0C: D100001C 012BF5F8
	v_lshrrev_b32_e32 v28, 16, v28                             // 000000008D14: 20383890
	v_cmp_u_f32_e64 s[74:75], v31, v31                         // 000000008D18: D048004A 00023F1F
	v_bfe_u32 v248, v31, 16, 1                                 // 000000008D20: D1C800F8 0205211F
	v_add3_u32 v248, v31, v248, v251                           // 000000008D28: D1FF00F8 07EFF11F
	v_cndmask_b32_e64 v29, v248, v250, s[74:75]                // 000000008D30: D100001D 012BF5F8
	v_and_or_b32 v53, v29, v249, v28                           // 000000008D38: D2010035 0473F31D
	v_accvgpr_read_b32 v30, a172                               // 000000008D40: D3D8401E 180001AC
	v_accvgpr_read_b32 v31, a173                               // 000000008D48: D3D8401F 180001AD
	v_mul_f32_e32 v30, s48, v30                                // 000000008D50: 0A3C3C30
	v_mul_f32_e32 v31, s48, v31                                // 000000008D54: 0A3E3E30
	v_cmp_u_f32_e64 s[74:75], v30, v30                         // 000000008D58: D048004A 00023D1E
	v_bfe_u32 v248, v30, 16, 1                                 // 000000008D60: D1C800F8 0205211E
	v_add3_u32 v248, v30, v248, v251                           // 000000008D68: D1FF00F8 07EFF11E
	v_cndmask_b32_e64 v28, v248, v250, s[74:75]                // 000000008D70: D100001C 012BF5F8
	v_lshrrev_b32_e32 v28, 16, v28                             // 000000008D78: 20383890
	v_cmp_u_f32_e64 s[74:75], v31, v31                         // 000000008D7C: D048004A 00023F1F
	v_bfe_u32 v248, v31, 16, 1                                 // 000000008D84: D1C800F8 0205211F
	v_add3_u32 v248, v31, v248, v251                           // 000000008D8C: D1FF00F8 07EFF11F
	v_cndmask_b32_e64 v29, v248, v250, s[74:75]                // 000000008D94: D100001D 012BF5F8
	v_and_or_b32 v54, v29, v249, v28                           // 000000008D9C: D2010036 0473F31D
	v_accvgpr_read_b32 v30, a174                               // 000000008DA4: D3D8401E 180001AE
	v_accvgpr_read_b32 v31, a175                               // 000000008DAC: D3D8401F 180001AF
	v_mul_f32_e32 v30, s48, v30                                // 000000008DB4: 0A3C3C30
	v_mul_f32_e32 v31, s48, v31                                // 000000008DB8: 0A3E3E30
	v_cmp_u_f32_e64 s[74:75], v30, v30                         // 000000008DBC: D048004A 00023D1E
	v_bfe_u32 v248, v30, 16, 1                                 // 000000008DC4: D1C800F8 0205211E
	v_add3_u32 v248, v30, v248, v251                           // 000000008DCC: D1FF00F8 07EFF11E
	v_cndmask_b32_e64 v28, v248, v250, s[74:75]                // 000000008DD4: D100001C 012BF5F8
	v_lshrrev_b32_e32 v28, 16, v28                             // 000000008DDC: 20383890
	v_cmp_u_f32_e64 s[74:75], v31, v31                         // 000000008DE0: D048004A 00023F1F
	v_bfe_u32 v248, v31, 16, 1                                 // 000000008DE8: D1C800F8 0205211F
	v_add3_u32 v248, v31, v248, v251                           // 000000008DF0: D1FF00F8 07EFF11F
	v_cndmask_b32_e64 v29, v248, v250, s[74:75]                // 000000008DF8: D100001D 012BF5F8
	v_and_or_b32 v55, v29, v249, v28                           // 000000008E00: D2010037 0473F31D
	v_accvgpr_read_b32 v30, a176                               // 000000008E08: D3D8401E 180001B0
	v_accvgpr_read_b32 v31, a177                               // 000000008E10: D3D8401F 180001B1
	v_mul_f32_e32 v30, s48, v30                                // 000000008E18: 0A3C3C30
	v_mul_f32_e32 v31, s48, v31                                // 000000008E1C: 0A3E3E30
	v_cmp_u_f32_e64 s[74:75], v30, v30                         // 000000008E20: D048004A 00023D1E
	v_bfe_u32 v248, v30, 16, 1                                 // 000000008E28: D1C800F8 0205211E
	v_add3_u32 v248, v30, v248, v251                           // 000000008E30: D1FF00F8 07EFF11E
	v_cndmask_b32_e64 v28, v248, v250, s[74:75]                // 000000008E38: D100001C 012BF5F8
	v_lshrrev_b32_e32 v28, 16, v28                             // 000000008E40: 20383890
	v_cmp_u_f32_e64 s[74:75], v31, v31                         // 000000008E44: D048004A 00023F1F
	v_bfe_u32 v248, v31, 16, 1                                 // 000000008E4C: D1C800F8 0205211F
	v_add3_u32 v248, v31, v248, v251                           // 000000008E54: D1FF00F8 07EFF11F
	v_cndmask_b32_e64 v29, v248, v250, s[74:75]                // 000000008E5C: D100001D 012BF5F8
	v_and_or_b32 v56, v29, v249, v28                           // 000000008E64: D2010038 0473F31D
	v_accvgpr_read_b32 v30, a178                               // 000000008E6C: D3D8401E 180001B2
	v_accvgpr_read_b32 v31, a179                               // 000000008E74: D3D8401F 180001B3
	v_mul_f32_e32 v30, s48, v30                                // 000000008E7C: 0A3C3C30
	v_mul_f32_e32 v31, s48, v31                                // 000000008E80: 0A3E3E30
	v_cmp_u_f32_e64 s[74:75], v30, v30                         // 000000008E84: D048004A 00023D1E
	v_bfe_u32 v248, v30, 16, 1                                 // 000000008E8C: D1C800F8 0205211E
	v_add3_u32 v248, v30, v248, v251                           // 000000008E94: D1FF00F8 07EFF11E
	v_cndmask_b32_e64 v28, v248, v250, s[74:75]                // 000000008E9C: D100001C 012BF5F8
	v_lshrrev_b32_e32 v28, 16, v28                             // 000000008EA4: 20383890
	v_cmp_u_f32_e64 s[74:75], v31, v31                         // 000000008EA8: D048004A 00023F1F
	v_bfe_u32 v248, v31, 16, 1                                 // 000000008EB0: D1C800F8 0205211F
	v_add3_u32 v248, v31, v248, v251                           // 000000008EB8: D1FF00F8 07EFF11F
	v_cndmask_b32_e64 v29, v248, v250, s[74:75]                // 000000008EC0: D100001D 012BF5F8
	v_and_or_b32 v57, v29, v249, v28                           // 000000008EC8: D2010039 0473F31D
	v_accvgpr_read_b32 v30, a180                               // 000000008ED0: D3D8401E 180001B4
	v_accvgpr_read_b32 v31, a181                               // 000000008ED8: D3D8401F 180001B5
	v_mul_f32_e32 v30, s48, v30                                // 000000008EE0: 0A3C3C30
	v_mul_f32_e32 v31, s48, v31                                // 000000008EE4: 0A3E3E30
	v_cmp_u_f32_e64 s[74:75], v30, v30                         // 000000008EE8: D048004A 00023D1E
	v_bfe_u32 v248, v30, 16, 1                                 // 000000008EF0: D1C800F8 0205211E
	v_add3_u32 v248, v30, v248, v251                           // 000000008EF8: D1FF00F8 07EFF11E
	v_cndmask_b32_e64 v28, v248, v250, s[74:75]                // 000000008F00: D100001C 012BF5F8
	v_lshrrev_b32_e32 v28, 16, v28                             // 000000008F08: 20383890
	v_cmp_u_f32_e64 s[74:75], v31, v31                         // 000000008F0C: D048004A 00023F1F
	v_bfe_u32 v248, v31, 16, 1                                 // 000000008F14: D1C800F8 0205211F
	v_add3_u32 v248, v31, v248, v251                           // 000000008F1C: D1FF00F8 07EFF11F
	v_cndmask_b32_e64 v29, v248, v250, s[74:75]                // 000000008F24: D100001D 012BF5F8
	v_and_or_b32 v58, v29, v249, v28                           // 000000008F2C: D201003A 0473F31D
	v_accvgpr_read_b32 v30, a182                               // 000000008F34: D3D8401E 180001B6
	v_accvgpr_read_b32 v31, a183                               // 000000008F3C: D3D8401F 180001B7
	v_mul_f32_e32 v30, s48, v30                                // 000000008F44: 0A3C3C30
	v_mul_f32_e32 v31, s48, v31                                // 000000008F48: 0A3E3E30
	v_cmp_u_f32_e64 s[74:75], v30, v30                         // 000000008F4C: D048004A 00023D1E
	v_bfe_u32 v248, v30, 16, 1                                 // 000000008F54: D1C800F8 0205211E
	v_add3_u32 v248, v30, v248, v251                           // 000000008F5C: D1FF00F8 07EFF11E
	v_cndmask_b32_e64 v28, v248, v250, s[74:75]                // 000000008F64: D100001C 012BF5F8
	v_lshrrev_b32_e32 v28, 16, v28                             // 000000008F6C: 20383890
	v_cmp_u_f32_e64 s[74:75], v31, v31                         // 000000008F70: D048004A 00023F1F
	v_bfe_u32 v248, v31, 16, 1                                 // 000000008F78: D1C800F8 0205211F
	v_add3_u32 v248, v31, v248, v251                           // 000000008F80: D1FF00F8 07EFF11F
	v_cndmask_b32_e64 v29, v248, v250, s[74:75]                // 000000008F88: D100001D 012BF5F8
	v_and_or_b32 v59, v29, v249, v28                           // 000000008F90: D201003B 0473F31D
	v_accvgpr_read_b32 v30, a184                               // 000000008F98: D3D8401E 180001B8
	v_accvgpr_read_b32 v31, a185                               // 000000008FA0: D3D8401F 180001B9
	v_mul_f32_e32 v30, s48, v30                                // 000000008FA8: 0A3C3C30
	v_mul_f32_e32 v31, s48, v31                                // 000000008FAC: 0A3E3E30
	v_cmp_u_f32_e64 s[74:75], v30, v30                         // 000000008FB0: D048004A 00023D1E
	v_bfe_u32 v248, v30, 16, 1                                 // 000000008FB8: D1C800F8 0205211E
	v_add3_u32 v248, v30, v248, v251                           // 000000008FC0: D1FF00F8 07EFF11E
	v_cndmask_b32_e64 v28, v248, v250, s[74:75]                // 000000008FC8: D100001C 012BF5F8
	v_lshrrev_b32_e32 v28, 16, v28                             // 000000008FD0: 20383890
	v_cmp_u_f32_e64 s[74:75], v31, v31                         // 000000008FD4: D048004A 00023F1F
	v_bfe_u32 v248, v31, 16, 1                                 // 000000008FDC: D1C800F8 0205211F
	v_add3_u32 v248, v31, v248, v251                           // 000000008FE4: D1FF00F8 07EFF11F
	v_cndmask_b32_e64 v29, v248, v250, s[74:75]                // 000000008FEC: D100001D 012BF5F8
	v_and_or_b32 v60, v29, v249, v28                           // 000000008FF4: D201003C 0473F31D
	v_accvgpr_read_b32 v30, a186                               // 000000008FFC: D3D8401E 180001BA
	v_accvgpr_read_b32 v31, a187                               // 000000009004: D3D8401F 180001BB
	v_mul_f32_e32 v30, s48, v30                                // 00000000900C: 0A3C3C30
	v_mul_f32_e32 v31, s48, v31                                // 000000009010: 0A3E3E30
	v_cmp_u_f32_e64 s[74:75], v30, v30                         // 000000009014: D048004A 00023D1E
	v_bfe_u32 v248, v30, 16, 1                                 // 00000000901C: D1C800F8 0205211E
	v_add3_u32 v248, v30, v248, v251                           // 000000009024: D1FF00F8 07EFF11E
	v_cndmask_b32_e64 v28, v248, v250, s[74:75]                // 00000000902C: D100001C 012BF5F8
	v_lshrrev_b32_e32 v28, 16, v28                             // 000000009034: 20383890
	v_cmp_u_f32_e64 s[74:75], v31, v31                         // 000000009038: D048004A 00023F1F
	v_bfe_u32 v248, v31, 16, 1                                 // 000000009040: D1C800F8 0205211F
	v_add3_u32 v248, v31, v248, v251                           // 000000009048: D1FF00F8 07EFF11F
	v_cndmask_b32_e64 v29, v248, v250, s[74:75]                // 000000009050: D100001D 012BF5F8
	v_and_or_b32 v61, v29, v249, v28                           // 000000009058: D201003D 0473F31D
	v_accvgpr_read_b32 v30, a188                               // 000000009060: D3D8401E 180001BC
	v_accvgpr_read_b32 v31, a189                               // 000000009068: D3D8401F 180001BD
	v_mul_f32_e32 v30, s48, v30                                // 000000009070: 0A3C3C30
	v_mul_f32_e32 v31, s48, v31                                // 000000009074: 0A3E3E30
	v_cmp_u_f32_e64 s[74:75], v30, v30                         // 000000009078: D048004A 00023D1E
	v_bfe_u32 v248, v30, 16, 1                                 // 000000009080: D1C800F8 0205211E
	v_add3_u32 v248, v30, v248, v251                           // 000000009088: D1FF00F8 07EFF11E
	v_cndmask_b32_e64 v28, v248, v250, s[74:75]                // 000000009090: D100001C 012BF5F8
	v_lshrrev_b32_e32 v28, 16, v28                             // 000000009098: 20383890
	v_cmp_u_f32_e64 s[74:75], v31, v31                         // 00000000909C: D048004A 00023F1F
	v_bfe_u32 v248, v31, 16, 1                                 // 0000000090A4: D1C800F8 0205211F
	v_add3_u32 v248, v31, v248, v251                           // 0000000090AC: D1FF00F8 07EFF11F
	v_cndmask_b32_e64 v29, v248, v250, s[74:75]                // 0000000090B4: D100001D 012BF5F8
	v_and_or_b32 v62, v29, v249, v28                           // 0000000090BC: D201003E 0473F31D
	v_accvgpr_read_b32 v30, a190                               // 0000000090C4: D3D8401E 180001BE
	v_accvgpr_read_b32 v31, a191                               // 0000000090CC: D3D8401F 180001BF
	v_mul_f32_e32 v30, s48, v30                                // 0000000090D4: 0A3C3C30
	v_mul_f32_e32 v31, s48, v31                                // 0000000090D8: 0A3E3E30
	v_cmp_u_f32_e64 s[74:75], v30, v30                         // 0000000090DC: D048004A 00023D1E
	v_bfe_u32 v248, v30, 16, 1                                 // 0000000090E4: D1C800F8 0205211E
	v_add3_u32 v248, v30, v248, v251                           // 0000000090EC: D1FF00F8 07EFF11E
	v_cndmask_b32_e64 v28, v248, v250, s[74:75]                // 0000000090F4: D100001C 012BF5F8
	v_lshrrev_b32_e32 v28, 16, v28                             // 0000000090FC: 20383890
	v_cmp_u_f32_e64 s[74:75], v31, v31                         // 000000009100: D048004A 00023F1F
	v_bfe_u32 v248, v31, 16, 1                                 // 000000009108: D1C800F8 0205211F
	v_add3_u32 v248, v31, v248, v251                           // 000000009110: D1FF00F8 07EFF11F
	v_cndmask_b32_e64 v29, v248, v250, s[74:75]                // 000000009118: D100001D 012BF5F8
	v_and_or_b32 v63, v29, v249, v28                           // 000000009120: D201003F 0473F31D
	ds_write_b64 v25, v[48:49]                                 // 000000009128: D89A0000 00003019
	ds_write_b64 v25, v[50:51] offset:528                      // 000000009130: D89A0210 00003219
	ds_write_b64 v25, v[52:53] offset:1056                     // 000000009138: D89A0420 00003419
	ds_write_b64 v25, v[54:55] offset:1584                     // 000000009140: D89A0630 00003619
	ds_write_b64 v25, v[56:57] offset:2112                     // 000000009148: D89A0840 00003819
	ds_write_b64 v25, v[58:59] offset:2640                     // 000000009150: D89A0A50 00003A19
	ds_write_b64 v25, v[60:61] offset:3168                     // 000000009158: D89A0C60 00003C19
	ds_write_b64 v25, v[62:63] offset:3696                     // 000000009160: D89A0E70 00003E19
	s_waitcnt lgkmcnt(0)                                       // 000000009168: BF8CC07F
	s_barrier                                                  // 00000000916C: BF8A0000
	ds_read_b64 v[48:49], v24                                  // 000000009170: D8EC0000 30000018
	ds_read_b64 v[50:51], v24 offset:128                       // 000000009178: D8EC0080 32000018
	ds_read_b64 v[52:53], v24 offset:32                        // 000000009180: D8EC0020 34000018
	ds_read_b64 v[54:55], v24 offset:160                       // 000000009188: D8EC00A0 36000018
	ds_read_b64 v[56:57], v24 offset:64                        // 000000009190: D8EC0040 38000018
	ds_read_b64 v[58:59], v24 offset:192                       // 000000009198: D8EC00C0 3A000018
	ds_read_b64 v[60:61], v24 offset:96                        // 0000000091A0: D8EC0060 3C000018
	ds_read_b64 v[62:63], v24 offset:224                       // 0000000091A8: D8EC00E0 3E000018
	s_waitcnt lgkmcnt(0)                                       // 0000000091B0: BF8CC07F
	buffer_store_dwordx4 v[48:51], v5, s[36:39], 0 idxen       // 0000000091B4: E07C2000 80093005
	v_add_u32_e32 v5, s46, v5                                  // 0000000091BC: 680A0A2E
	buffer_store_dwordx4 v[52:55], v5, s[36:39], 0 idxen       // 0000000091C0: E07C2000 80093405
	v_add_u32_e32 v5, s46, v5                                  // 0000000091C8: 680A0A2E
	buffer_store_dwordx4 v[56:59], v5, s[36:39], 0 idxen       // 0000000091CC: E07C2000 80093805
	v_add_u32_e32 v5, s46, v5                                  // 0000000091D4: 680A0A2E
	buffer_store_dwordx4 v[60:63], v5, s[36:39], 0 idxen       // 0000000091D8: E07C2000 80093C05
	v_add_u32_e32 v5, s46, v5                                  // 0000000091E0: 680A0A2E
	s_mul_i32 s60, 12, s46                                     // 0000000091E4: 923C2E8C
	v_add_u32_e32 v5, s60, v5                                  // 0000000091E8: 680A0A3C
	s_barrier                                                  // 0000000091EC: BF8A0000
	s_cmp_ge_i32 1, s73                                        // 0000000091F0: BF034981
	s_cbranch_scc1 label_1886                                  // 0000000091F4: BF850388
	v_accvgpr_read_b32 v30, a192                               // 0000000091F8: D3D8401E 180001C0
	v_accvgpr_read_b32 v31, a193                               // 000000009200: D3D8401F 180001C1
	v_mul_f32_e32 v30, s48, v30                                // 000000009208: 0A3C3C30
	v_mul_f32_e32 v31, s48, v31                                // 00000000920C: 0A3E3E30
	v_cmp_u_f32_e64 s[74:75], v30, v30                         // 000000009210: D048004A 00023D1E
	v_bfe_u32 v248, v30, 16, 1                                 // 000000009218: D1C800F8 0205211E
	v_add3_u32 v248, v30, v248, v251                           // 000000009220: D1FF00F8 07EFF11E
	v_cndmask_b32_e64 v28, v248, v250, s[74:75]                // 000000009228: D100001C 012BF5F8
	v_lshrrev_b32_e32 v28, 16, v28                             // 000000009230: 20383890
	v_cmp_u_f32_e64 s[74:75], v31, v31                         // 000000009234: D048004A 00023F1F
	v_bfe_u32 v248, v31, 16, 1                                 // 00000000923C: D1C800F8 0205211F
	v_add3_u32 v248, v31, v248, v251                           // 000000009244: D1FF00F8 07EFF11F
	v_cndmask_b32_e64 v29, v248, v250, s[74:75]                // 00000000924C: D100001D 012BF5F8
	v_and_or_b32 v64, v29, v249, v28                           // 000000009254: D2010040 0473F31D
	v_accvgpr_read_b32 v30, a194                               // 00000000925C: D3D8401E 180001C2
	v_accvgpr_read_b32 v31, a195                               // 000000009264: D3D8401F 180001C3
	v_mul_f32_e32 v30, s48, v30                                // 00000000926C: 0A3C3C30
	v_mul_f32_e32 v31, s48, v31                                // 000000009270: 0A3E3E30
	v_cmp_u_f32_e64 s[74:75], v30, v30                         // 000000009274: D048004A 00023D1E
	v_bfe_u32 v248, v30, 16, 1                                 // 00000000927C: D1C800F8 0205211E
	v_add3_u32 v248, v30, v248, v251                           // 000000009284: D1FF00F8 07EFF11E
	v_cndmask_b32_e64 v28, v248, v250, s[74:75]                // 00000000928C: D100001C 012BF5F8
	v_lshrrev_b32_e32 v28, 16, v28                             // 000000009294: 20383890
	v_cmp_u_f32_e64 s[74:75], v31, v31                         // 000000009298: D048004A 00023F1F
	v_bfe_u32 v248, v31, 16, 1                                 // 0000000092A0: D1C800F8 0205211F
	v_add3_u32 v248, v31, v248, v251                           // 0000000092A8: D1FF00F8 07EFF11F
	v_cndmask_b32_e64 v29, v248, v250, s[74:75]                // 0000000092B0: D100001D 012BF5F8
	v_and_or_b32 v65, v29, v249, v28                           // 0000000092B8: D2010041 0473F31D
	v_accvgpr_read_b32 v30, a196                               // 0000000092C0: D3D8401E 180001C4
	v_accvgpr_read_b32 v31, a197                               // 0000000092C8: D3D8401F 180001C5
	v_mul_f32_e32 v30, s48, v30                                // 0000000092D0: 0A3C3C30
	v_mul_f32_e32 v31, s48, v31                                // 0000000092D4: 0A3E3E30
	v_cmp_u_f32_e64 s[74:75], v30, v30                         // 0000000092D8: D048004A 00023D1E
	v_bfe_u32 v248, v30, 16, 1                                 // 0000000092E0: D1C800F8 0205211E
	v_add3_u32 v248, v30, v248, v251                           // 0000000092E8: D1FF00F8 07EFF11E
	v_cndmask_b32_e64 v28, v248, v250, s[74:75]                // 0000000092F0: D100001C 012BF5F8
	v_lshrrev_b32_e32 v28, 16, v28                             // 0000000092F8: 20383890
	v_cmp_u_f32_e64 s[74:75], v31, v31                         // 0000000092FC: D048004A 00023F1F
	v_bfe_u32 v248, v31, 16, 1                                 // 000000009304: D1C800F8 0205211F
	v_add3_u32 v248, v31, v248, v251                           // 00000000930C: D1FF00F8 07EFF11F
	v_cndmask_b32_e64 v29, v248, v250, s[74:75]                // 000000009314: D100001D 012BF5F8
	v_and_or_b32 v66, v29, v249, v28                           // 00000000931C: D2010042 0473F31D
	v_accvgpr_read_b32 v30, a198                               // 000000009324: D3D8401E 180001C6
	v_accvgpr_read_b32 v31, a199                               // 00000000932C: D3D8401F 180001C7
	v_mul_f32_e32 v30, s48, v30                                // 000000009334: 0A3C3C30
	v_mul_f32_e32 v31, s48, v31                                // 000000009338: 0A3E3E30
	v_cmp_u_f32_e64 s[74:75], v30, v30                         // 00000000933C: D048004A 00023D1E
	v_bfe_u32 v248, v30, 16, 1                                 // 000000009344: D1C800F8 0205211E
	v_add3_u32 v248, v30, v248, v251                           // 00000000934C: D1FF00F8 07EFF11E
	v_cndmask_b32_e64 v28, v248, v250, s[74:75]                // 000000009354: D100001C 012BF5F8
	v_lshrrev_b32_e32 v28, 16, v28                             // 00000000935C: 20383890
	v_cmp_u_f32_e64 s[74:75], v31, v31                         // 000000009360: D048004A 00023F1F
	v_bfe_u32 v248, v31, 16, 1                                 // 000000009368: D1C800F8 0205211F
	v_add3_u32 v248, v31, v248, v251                           // 000000009370: D1FF00F8 07EFF11F
	v_cndmask_b32_e64 v29, v248, v250, s[74:75]                // 000000009378: D100001D 012BF5F8
	v_and_or_b32 v67, v29, v249, v28                           // 000000009380: D2010043 0473F31D
	v_accvgpr_read_b32 v30, a200                               // 000000009388: D3D8401E 180001C8
	v_accvgpr_read_b32 v31, a201                               // 000000009390: D3D8401F 180001C9
	v_mul_f32_e32 v30, s48, v30                                // 000000009398: 0A3C3C30
	v_mul_f32_e32 v31, s48, v31                                // 00000000939C: 0A3E3E30
	v_cmp_u_f32_e64 s[74:75], v30, v30                         // 0000000093A0: D048004A 00023D1E
	v_bfe_u32 v248, v30, 16, 1                                 // 0000000093A8: D1C800F8 0205211E
	v_add3_u32 v248, v30, v248, v251                           // 0000000093B0: D1FF00F8 07EFF11E
	v_cndmask_b32_e64 v28, v248, v250, s[74:75]                // 0000000093B8: D100001C 012BF5F8
	v_lshrrev_b32_e32 v28, 16, v28                             // 0000000093C0: 20383890
	v_cmp_u_f32_e64 s[74:75], v31, v31                         // 0000000093C4: D048004A 00023F1F
	v_bfe_u32 v248, v31, 16, 1                                 // 0000000093CC: D1C800F8 0205211F
	v_add3_u32 v248, v31, v248, v251                           // 0000000093D4: D1FF00F8 07EFF11F
	v_cndmask_b32_e64 v29, v248, v250, s[74:75]                // 0000000093DC: D100001D 012BF5F8
	v_and_or_b32 v68, v29, v249, v28                           // 0000000093E4: D2010044 0473F31D
	v_accvgpr_read_b32 v30, a202                               // 0000000093EC: D3D8401E 180001CA
	v_accvgpr_read_b32 v31, a203                               // 0000000093F4: D3D8401F 180001CB
	v_mul_f32_e32 v30, s48, v30                                // 0000000093FC: 0A3C3C30
	v_mul_f32_e32 v31, s48, v31                                // 000000009400: 0A3E3E30
	v_cmp_u_f32_e64 s[74:75], v30, v30                         // 000000009404: D048004A 00023D1E
	v_bfe_u32 v248, v30, 16, 1                                 // 00000000940C: D1C800F8 0205211E
	v_add3_u32 v248, v30, v248, v251                           // 000000009414: D1FF00F8 07EFF11E
	v_cndmask_b32_e64 v28, v248, v250, s[74:75]                // 00000000941C: D100001C 012BF5F8
	v_lshrrev_b32_e32 v28, 16, v28                             // 000000009424: 20383890
	v_cmp_u_f32_e64 s[74:75], v31, v31                         // 000000009428: D048004A 00023F1F
	v_bfe_u32 v248, v31, 16, 1                                 // 000000009430: D1C800F8 0205211F
	v_add3_u32 v248, v31, v248, v251                           // 000000009438: D1FF00F8 07EFF11F
	v_cndmask_b32_e64 v29, v248, v250, s[74:75]                // 000000009440: D100001D 012BF5F8
	v_and_or_b32 v69, v29, v249, v28                           // 000000009448: D2010045 0473F31D
	v_accvgpr_read_b32 v30, a204                               // 000000009450: D3D8401E 180001CC
	v_accvgpr_read_b32 v31, a205                               // 000000009458: D3D8401F 180001CD
	v_mul_f32_e32 v30, s48, v30                                // 000000009460: 0A3C3C30
	v_mul_f32_e32 v31, s48, v31                                // 000000009464: 0A3E3E30
	v_cmp_u_f32_e64 s[74:75], v30, v30                         // 000000009468: D048004A 00023D1E
	v_bfe_u32 v248, v30, 16, 1                                 // 000000009470: D1C800F8 0205211E
	v_add3_u32 v248, v30, v248, v251                           // 000000009478: D1FF00F8 07EFF11E
	v_cndmask_b32_e64 v28, v248, v250, s[74:75]                // 000000009480: D100001C 012BF5F8
	v_lshrrev_b32_e32 v28, 16, v28                             // 000000009488: 20383890
	v_cmp_u_f32_e64 s[74:75], v31, v31                         // 00000000948C: D048004A 00023F1F
	v_bfe_u32 v248, v31, 16, 1                                 // 000000009494: D1C800F8 0205211F
	v_add3_u32 v248, v31, v248, v251                           // 00000000949C: D1FF00F8 07EFF11F
	v_cndmask_b32_e64 v29, v248, v250, s[74:75]                // 0000000094A4: D100001D 012BF5F8
	v_and_or_b32 v70, v29, v249, v28                           // 0000000094AC: D2010046 0473F31D
	v_accvgpr_read_b32 v30, a206                               // 0000000094B4: D3D8401E 180001CE
	v_accvgpr_read_b32 v31, a207                               // 0000000094BC: D3D8401F 180001CF
	v_mul_f32_e32 v30, s48, v30                                // 0000000094C4: 0A3C3C30
	v_mul_f32_e32 v31, s48, v31                                // 0000000094C8: 0A3E3E30
	v_cmp_u_f32_e64 s[74:75], v30, v30                         // 0000000094CC: D048004A 00023D1E
	v_bfe_u32 v248, v30, 16, 1                                 // 0000000094D4: D1C800F8 0205211E
	v_add3_u32 v248, v30, v248, v251                           // 0000000094DC: D1FF00F8 07EFF11E
	v_cndmask_b32_e64 v28, v248, v250, s[74:75]                // 0000000094E4: D100001C 012BF5F8
	v_lshrrev_b32_e32 v28, 16, v28                             // 0000000094EC: 20383890
	v_cmp_u_f32_e64 s[74:75], v31, v31                         // 0000000094F0: D048004A 00023F1F
	v_bfe_u32 v248, v31, 16, 1                                 // 0000000094F8: D1C800F8 0205211F
	v_add3_u32 v248, v31, v248, v251                           // 000000009500: D1FF00F8 07EFF11F
	v_cndmask_b32_e64 v29, v248, v250, s[74:75]                // 000000009508: D100001D 012BF5F8
	v_and_or_b32 v71, v29, v249, v28                           // 000000009510: D2010047 0473F31D
	v_accvgpr_read_b32 v30, a208                               // 000000009518: D3D8401E 180001D0
	v_accvgpr_read_b32 v31, a209                               // 000000009520: D3D8401F 180001D1
	v_mul_f32_e32 v30, s48, v30                                // 000000009528: 0A3C3C30
	v_mul_f32_e32 v31, s48, v31                                // 00000000952C: 0A3E3E30
	v_cmp_u_f32_e64 s[74:75], v30, v30                         // 000000009530: D048004A 00023D1E
	v_bfe_u32 v248, v30, 16, 1                                 // 000000009538: D1C800F8 0205211E
	v_add3_u32 v248, v30, v248, v251                           // 000000009540: D1FF00F8 07EFF11E
	v_cndmask_b32_e64 v28, v248, v250, s[74:75]                // 000000009548: D100001C 012BF5F8
	v_lshrrev_b32_e32 v28, 16, v28                             // 000000009550: 20383890
	v_cmp_u_f32_e64 s[74:75], v31, v31                         // 000000009554: D048004A 00023F1F
	v_bfe_u32 v248, v31, 16, 1                                 // 00000000955C: D1C800F8 0205211F
	v_add3_u32 v248, v31, v248, v251                           // 000000009564: D1FF00F8 07EFF11F
	v_cndmask_b32_e64 v29, v248, v250, s[74:75]                // 00000000956C: D100001D 012BF5F8
	v_and_or_b32 v72, v29, v249, v28                           // 000000009574: D2010048 0473F31D
	v_accvgpr_read_b32 v30, a210                               // 00000000957C: D3D8401E 180001D2
	v_accvgpr_read_b32 v31, a211                               // 000000009584: D3D8401F 180001D3
	v_mul_f32_e32 v30, s48, v30                                // 00000000958C: 0A3C3C30
	v_mul_f32_e32 v31, s48, v31                                // 000000009590: 0A3E3E30
	v_cmp_u_f32_e64 s[74:75], v30, v30                         // 000000009594: D048004A 00023D1E
	v_bfe_u32 v248, v30, 16, 1                                 // 00000000959C: D1C800F8 0205211E
	v_add3_u32 v248, v30, v248, v251                           // 0000000095A4: D1FF00F8 07EFF11E
	v_cndmask_b32_e64 v28, v248, v250, s[74:75]                // 0000000095AC: D100001C 012BF5F8
	v_lshrrev_b32_e32 v28, 16, v28                             // 0000000095B4: 20383890
	v_cmp_u_f32_e64 s[74:75], v31, v31                         // 0000000095B8: D048004A 00023F1F
	v_bfe_u32 v248, v31, 16, 1                                 // 0000000095C0: D1C800F8 0205211F
	v_add3_u32 v248, v31, v248, v251                           // 0000000095C8: D1FF00F8 07EFF11F
	v_cndmask_b32_e64 v29, v248, v250, s[74:75]                // 0000000095D0: D100001D 012BF5F8
	v_and_or_b32 v73, v29, v249, v28                           // 0000000095D8: D2010049 0473F31D
	v_accvgpr_read_b32 v30, a212                               // 0000000095E0: D3D8401E 180001D4
	v_accvgpr_read_b32 v31, a213                               // 0000000095E8: D3D8401F 180001D5
	v_mul_f32_e32 v30, s48, v30                                // 0000000095F0: 0A3C3C30
	v_mul_f32_e32 v31, s48, v31                                // 0000000095F4: 0A3E3E30
	v_cmp_u_f32_e64 s[74:75], v30, v30                         // 0000000095F8: D048004A 00023D1E
	v_bfe_u32 v248, v30, 16, 1                                 // 000000009600: D1C800F8 0205211E
	v_add3_u32 v248, v30, v248, v251                           // 000000009608: D1FF00F8 07EFF11E
	v_cndmask_b32_e64 v28, v248, v250, s[74:75]                // 000000009610: D100001C 012BF5F8
	v_lshrrev_b32_e32 v28, 16, v28                             // 000000009618: 20383890
	v_cmp_u_f32_e64 s[74:75], v31, v31                         // 00000000961C: D048004A 00023F1F
	v_bfe_u32 v248, v31, 16, 1                                 // 000000009624: D1C800F8 0205211F
	v_add3_u32 v248, v31, v248, v251                           // 00000000962C: D1FF00F8 07EFF11F
	v_cndmask_b32_e64 v29, v248, v250, s[74:75]                // 000000009634: D100001D 012BF5F8
	v_and_or_b32 v74, v29, v249, v28                           // 00000000963C: D201004A 0473F31D
	v_accvgpr_read_b32 v30, a214                               // 000000009644: D3D8401E 180001D6
	v_accvgpr_read_b32 v31, a215                               // 00000000964C: D3D8401F 180001D7
	v_mul_f32_e32 v30, s48, v30                                // 000000009654: 0A3C3C30
	v_mul_f32_e32 v31, s48, v31                                // 000000009658: 0A3E3E30
	v_cmp_u_f32_e64 s[74:75], v30, v30                         // 00000000965C: D048004A 00023D1E
	v_bfe_u32 v248, v30, 16, 1                                 // 000000009664: D1C800F8 0205211E
	v_add3_u32 v248, v30, v248, v251                           // 00000000966C: D1FF00F8 07EFF11E
	v_cndmask_b32_e64 v28, v248, v250, s[74:75]                // 000000009674: D100001C 012BF5F8
	v_lshrrev_b32_e32 v28, 16, v28                             // 00000000967C: 20383890
	v_cmp_u_f32_e64 s[74:75], v31, v31                         // 000000009680: D048004A 00023F1F
	v_bfe_u32 v248, v31, 16, 1                                 // 000000009688: D1C800F8 0205211F
	v_add3_u32 v248, v31, v248, v251                           // 000000009690: D1FF00F8 07EFF11F
	v_cndmask_b32_e64 v29, v248, v250, s[74:75]                // 000000009698: D100001D 012BF5F8
	v_and_or_b32 v75, v29, v249, v28                           // 0000000096A0: D201004B 0473F31D
	v_accvgpr_read_b32 v30, a216                               // 0000000096A8: D3D8401E 180001D8
	v_accvgpr_read_b32 v31, a217                               // 0000000096B0: D3D8401F 180001D9
	v_mul_f32_e32 v30, s48, v30                                // 0000000096B8: 0A3C3C30
	v_mul_f32_e32 v31, s48, v31                                // 0000000096BC: 0A3E3E30
	v_cmp_u_f32_e64 s[74:75], v30, v30                         // 0000000096C0: D048004A 00023D1E
	v_bfe_u32 v248, v30, 16, 1                                 // 0000000096C8: D1C800F8 0205211E
	v_add3_u32 v248, v30, v248, v251                           // 0000000096D0: D1FF00F8 07EFF11E
	v_cndmask_b32_e64 v28, v248, v250, s[74:75]                // 0000000096D8: D100001C 012BF5F8
	v_lshrrev_b32_e32 v28, 16, v28                             // 0000000096E0: 20383890
	v_cmp_u_f32_e64 s[74:75], v31, v31                         // 0000000096E4: D048004A 00023F1F
	v_bfe_u32 v248, v31, 16, 1                                 // 0000000096EC: D1C800F8 0205211F
	v_add3_u32 v248, v31, v248, v251                           // 0000000096F4: D1FF00F8 07EFF11F
	v_cndmask_b32_e64 v29, v248, v250, s[74:75]                // 0000000096FC: D100001D 012BF5F8
	v_and_or_b32 v76, v29, v249, v28                           // 000000009704: D201004C 0473F31D
	v_accvgpr_read_b32 v30, a218                               // 00000000970C: D3D8401E 180001DA
	v_accvgpr_read_b32 v31, a219                               // 000000009714: D3D8401F 180001DB
	v_mul_f32_e32 v30, s48, v30                                // 00000000971C: 0A3C3C30
	v_mul_f32_e32 v31, s48, v31                                // 000000009720: 0A3E3E30
	v_cmp_u_f32_e64 s[74:75], v30, v30                         // 000000009724: D048004A 00023D1E
	v_bfe_u32 v248, v30, 16, 1                                 // 00000000972C: D1C800F8 0205211E
	v_add3_u32 v248, v30, v248, v251                           // 000000009734: D1FF00F8 07EFF11E
	v_cndmask_b32_e64 v28, v248, v250, s[74:75]                // 00000000973C: D100001C 012BF5F8
	v_lshrrev_b32_e32 v28, 16, v28                             // 000000009744: 20383890
	v_cmp_u_f32_e64 s[74:75], v31, v31                         // 000000009748: D048004A 00023F1F
	v_bfe_u32 v248, v31, 16, 1                                 // 000000009750: D1C800F8 0205211F
	v_add3_u32 v248, v31, v248, v251                           // 000000009758: D1FF00F8 07EFF11F
	v_cndmask_b32_e64 v29, v248, v250, s[74:75]                // 000000009760: D100001D 012BF5F8
	v_and_or_b32 v77, v29, v249, v28                           // 000000009768: D201004D 0473F31D
	v_accvgpr_read_b32 v30, a220                               // 000000009770: D3D8401E 180001DC
	v_accvgpr_read_b32 v31, a221                               // 000000009778: D3D8401F 180001DD
	v_mul_f32_e32 v30, s48, v30                                // 000000009780: 0A3C3C30
	v_mul_f32_e32 v31, s48, v31                                // 000000009784: 0A3E3E30
	v_cmp_u_f32_e64 s[74:75], v30, v30                         // 000000009788: D048004A 00023D1E
	v_bfe_u32 v248, v30, 16, 1                                 // 000000009790: D1C800F8 0205211E
	v_add3_u32 v248, v30, v248, v251                           // 000000009798: D1FF00F8 07EFF11E
	v_cndmask_b32_e64 v28, v248, v250, s[74:75]                // 0000000097A0: D100001C 012BF5F8
	v_lshrrev_b32_e32 v28, 16, v28                             // 0000000097A8: 20383890
	v_cmp_u_f32_e64 s[74:75], v31, v31                         // 0000000097AC: D048004A 00023F1F
	v_bfe_u32 v248, v31, 16, 1                                 // 0000000097B4: D1C800F8 0205211F
	v_add3_u32 v248, v31, v248, v251                           // 0000000097BC: D1FF00F8 07EFF11F
	v_cndmask_b32_e64 v29, v248, v250, s[74:75]                // 0000000097C4: D100001D 012BF5F8
	v_and_or_b32 v78, v29, v249, v28                           // 0000000097CC: D201004E 0473F31D
	v_accvgpr_read_b32 v30, a222                               // 0000000097D4: D3D8401E 180001DE
	v_accvgpr_read_b32 v31, a223                               // 0000000097DC: D3D8401F 180001DF
	v_mul_f32_e32 v30, s48, v30                                // 0000000097E4: 0A3C3C30
	v_mul_f32_e32 v31, s48, v31                                // 0000000097E8: 0A3E3E30
	v_cmp_u_f32_e64 s[74:75], v30, v30                         // 0000000097EC: D048004A 00023D1E
	v_bfe_u32 v248, v30, 16, 1                                 // 0000000097F4: D1C800F8 0205211E
	v_add3_u32 v248, v30, v248, v251                           // 0000000097FC: D1FF00F8 07EFF11E
	v_cndmask_b32_e64 v28, v248, v250, s[74:75]                // 000000009804: D100001C 012BF5F8
	v_lshrrev_b32_e32 v28, 16, v28                             // 00000000980C: 20383890
	v_cmp_u_f32_e64 s[74:75], v31, v31                         // 000000009810: D048004A 00023F1F
	v_bfe_u32 v248, v31, 16, 1                                 // 000000009818: D1C800F8 0205211F
	v_add3_u32 v248, v31, v248, v251                           // 000000009820: D1FF00F8 07EFF11F
	v_cndmask_b32_e64 v29, v248, v250, s[74:75]                // 000000009828: D100001D 012BF5F8
	v_and_or_b32 v79, v29, v249, v28                           // 000000009830: D201004F 0473F31D
	ds_write_b64 v25, v[64:65] offset:16896                    // 000000009838: D89A4200 00004019
	ds_write_b64 v25, v[66:67] offset:17424                    // 000000009840: D89A4410 00004219
	ds_write_b64 v25, v[68:69] offset:17952                    // 000000009848: D89A4620 00004419
	ds_write_b64 v25, v[70:71] offset:18480                    // 000000009850: D89A4830 00004619
	ds_write_b64 v25, v[72:73] offset:19008                    // 000000009858: D89A4A40 00004819
	ds_write_b64 v25, v[74:75] offset:19536                    // 000000009860: D89A4C50 00004A19
	ds_write_b64 v25, v[76:77] offset:20064                    // 000000009868: D89A4E60 00004C19
	ds_write_b64 v25, v[78:79] offset:20592                    // 000000009870: D89A5070 00004E19
	s_waitcnt lgkmcnt(0)                                       // 000000009878: BF8CC07F
	s_barrier                                                  // 00000000987C: BF8A0000
	ds_read_b64 v[64:65], v24 offset:16896                     // 000000009880: D8EC4200 40000018
	ds_read_b64 v[66:67], v24 offset:17024                     // 000000009888: D8EC4280 42000018
	ds_read_b64 v[68:69], v24 offset:16928                     // 000000009890: D8EC4220 44000018
	ds_read_b64 v[70:71], v24 offset:17056                     // 000000009898: D8EC42A0 46000018
	ds_read_b64 v[72:73], v24 offset:16960                     // 0000000098A0: D8EC4240 48000018
	ds_read_b64 v[74:75], v24 offset:17088                     // 0000000098A8: D8EC42C0 4A000018
	ds_read_b64 v[76:77], v24 offset:16992                     // 0000000098B0: D8EC4260 4C000018
	ds_read_b64 v[78:79], v24 offset:17120                     // 0000000098B8: D8EC42E0 4E000018
	s_waitcnt lgkmcnt(0)                                       // 0000000098C0: BF8CC07F
	buffer_store_dwordx4 v[64:67], v5, s[36:39], 0 idxen       // 0000000098C4: E07C2000 80094005
	v_add_u32_e32 v5, s46, v5                                  // 0000000098CC: 680A0A2E
	buffer_store_dwordx4 v[68:71], v5, s[36:39], 0 idxen       // 0000000098D0: E07C2000 80094405
	v_add_u32_e32 v5, s46, v5                                  // 0000000098D8: 680A0A2E
	buffer_store_dwordx4 v[72:75], v5, s[36:39], 0 idxen       // 0000000098DC: E07C2000 80094805
	v_add_u32_e32 v5, s46, v5                                  // 0000000098E4: 680A0A2E
	buffer_store_dwordx4 v[76:79], v5, s[36:39], 0 idxen       // 0000000098E8: E07C2000 80094C05
	v_add_u32_e32 v5, s46, v5                                  // 0000000098F0: 680A0A2E
	s_mul_i32 s60, 12, s46                                     // 0000000098F4: 923C2E8C
	v_add_u32_e32 v5, s60, v5                                  // 0000000098F8: 680A0A3C
	s_barrier                                                  // 0000000098FC: BF8A0000
	s_cmp_ge_i32 2, s73                                        // 000000009900: BF034982
	s_cbranch_scc1 label_1886                                  // 000000009904: BF8501C4
	v_accvgpr_read_b32 v30, a224                               // 000000009908: D3D8401E 180001E0
	v_accvgpr_read_b32 v31, a225                               // 000000009910: D3D8401F 180001E1
	v_mul_f32_e32 v30, s48, v30                                // 000000009918: 0A3C3C30
	v_mul_f32_e32 v31, s48, v31                                // 00000000991C: 0A3E3E30
	v_cmp_u_f32_e64 s[74:75], v30, v30                         // 000000009920: D048004A 00023D1E
	v_bfe_u32 v248, v30, 16, 1                                 // 000000009928: D1C800F8 0205211E
	v_add3_u32 v248, v30, v248, v251                           // 000000009930: D1FF00F8 07EFF11E
	v_cndmask_b32_e64 v28, v248, v250, s[74:75]                // 000000009938: D100001C 012BF5F8
	v_lshrrev_b32_e32 v28, 16, v28                             // 000000009940: 20383890
	v_cmp_u_f32_e64 s[74:75], v31, v31                         // 000000009944: D048004A 00023F1F
	v_bfe_u32 v248, v31, 16, 1                                 // 00000000994C: D1C800F8 0205211F
	v_add3_u32 v248, v31, v248, v251                           // 000000009954: D1FF00F8 07EFF11F
	v_cndmask_b32_e64 v29, v248, v250, s[74:75]                // 00000000995C: D100001D 012BF5F8
	v_and_or_b32 v80, v29, v249, v28                           // 000000009964: D2010050 0473F31D
	v_accvgpr_read_b32 v30, a226                               // 00000000996C: D3D8401E 180001E2
	v_accvgpr_read_b32 v31, a227                               // 000000009974: D3D8401F 180001E3
	v_mul_f32_e32 v30, s48, v30                                // 00000000997C: 0A3C3C30
	v_mul_f32_e32 v31, s48, v31                                // 000000009980: 0A3E3E30
	v_cmp_u_f32_e64 s[74:75], v30, v30                         // 000000009984: D048004A 00023D1E
	v_bfe_u32 v248, v30, 16, 1                                 // 00000000998C: D1C800F8 0205211E
	v_add3_u32 v248, v30, v248, v251                           // 000000009994: D1FF00F8 07EFF11E
	v_cndmask_b32_e64 v28, v248, v250, s[74:75]                // 00000000999C: D100001C 012BF5F8
	v_lshrrev_b32_e32 v28, 16, v28                             // 0000000099A4: 20383890
	v_cmp_u_f32_e64 s[74:75], v31, v31                         // 0000000099A8: D048004A 00023F1F
	v_bfe_u32 v248, v31, 16, 1                                 // 0000000099B0: D1C800F8 0205211F
	v_add3_u32 v248, v31, v248, v251                           // 0000000099B8: D1FF00F8 07EFF11F
	v_cndmask_b32_e64 v29, v248, v250, s[74:75]                // 0000000099C0: D100001D 012BF5F8
	v_and_or_b32 v81, v29, v249, v28                           // 0000000099C8: D2010051 0473F31D
	v_accvgpr_read_b32 v30, a228                               // 0000000099D0: D3D8401E 180001E4
	v_accvgpr_read_b32 v31, a229                               // 0000000099D8: D3D8401F 180001E5
	v_mul_f32_e32 v30, s48, v30                                // 0000000099E0: 0A3C3C30
	v_mul_f32_e32 v31, s48, v31                                // 0000000099E4: 0A3E3E30
	v_cmp_u_f32_e64 s[74:75], v30, v30                         // 0000000099E8: D048004A 00023D1E
	v_bfe_u32 v248, v30, 16, 1                                 // 0000000099F0: D1C800F8 0205211E
	v_add3_u32 v248, v30, v248, v251                           // 0000000099F8: D1FF00F8 07EFF11E
	v_cndmask_b32_e64 v28, v248, v250, s[74:75]                // 000000009A00: D100001C 012BF5F8
	v_lshrrev_b32_e32 v28, 16, v28                             // 000000009A08: 20383890
	v_cmp_u_f32_e64 s[74:75], v31, v31                         // 000000009A0C: D048004A 00023F1F
	v_bfe_u32 v248, v31, 16, 1                                 // 000000009A14: D1C800F8 0205211F
	v_add3_u32 v248, v31, v248, v251                           // 000000009A1C: D1FF00F8 07EFF11F
	v_cndmask_b32_e64 v29, v248, v250, s[74:75]                // 000000009A24: D100001D 012BF5F8
	v_and_or_b32 v82, v29, v249, v28                           // 000000009A2C: D2010052 0473F31D
	v_accvgpr_read_b32 v30, a230                               // 000000009A34: D3D8401E 180001E6
	v_accvgpr_read_b32 v31, a231                               // 000000009A3C: D3D8401F 180001E7
	v_mul_f32_e32 v30, s48, v30                                // 000000009A44: 0A3C3C30
	v_mul_f32_e32 v31, s48, v31                                // 000000009A48: 0A3E3E30
	v_cmp_u_f32_e64 s[74:75], v30, v30                         // 000000009A4C: D048004A 00023D1E
	v_bfe_u32 v248, v30, 16, 1                                 // 000000009A54: D1C800F8 0205211E
	v_add3_u32 v248, v30, v248, v251                           // 000000009A5C: D1FF00F8 07EFF11E
	v_cndmask_b32_e64 v28, v248, v250, s[74:75]                // 000000009A64: D100001C 012BF5F8
	v_lshrrev_b32_e32 v28, 16, v28                             // 000000009A6C: 20383890
	v_cmp_u_f32_e64 s[74:75], v31, v31                         // 000000009A70: D048004A 00023F1F
	v_bfe_u32 v248, v31, 16, 1                                 // 000000009A78: D1C800F8 0205211F
	v_add3_u32 v248, v31, v248, v251                           // 000000009A80: D1FF00F8 07EFF11F
	v_cndmask_b32_e64 v29, v248, v250, s[74:75]                // 000000009A88: D100001D 012BF5F8
	v_and_or_b32 v83, v29, v249, v28                           // 000000009A90: D2010053 0473F31D
	v_accvgpr_read_b32 v30, a232                               // 000000009A98: D3D8401E 180001E8
	v_accvgpr_read_b32 v31, a233                               // 000000009AA0: D3D8401F 180001E9
	v_mul_f32_e32 v30, s48, v30                                // 000000009AA8: 0A3C3C30
	v_mul_f32_e32 v31, s48, v31                                // 000000009AAC: 0A3E3E30
	v_cmp_u_f32_e64 s[74:75], v30, v30                         // 000000009AB0: D048004A 00023D1E
	v_bfe_u32 v248, v30, 16, 1                                 // 000000009AB8: D1C800F8 0205211E
	v_add3_u32 v248, v30, v248, v251                           // 000000009AC0: D1FF00F8 07EFF11E
	v_cndmask_b32_e64 v28, v248, v250, s[74:75]                // 000000009AC8: D100001C 012BF5F8
	v_lshrrev_b32_e32 v28, 16, v28                             // 000000009AD0: 20383890
	v_cmp_u_f32_e64 s[74:75], v31, v31                         // 000000009AD4: D048004A 00023F1F
	v_bfe_u32 v248, v31, 16, 1                                 // 000000009ADC: D1C800F8 0205211F
	v_add3_u32 v248, v31, v248, v251                           // 000000009AE4: D1FF00F8 07EFF11F
	v_cndmask_b32_e64 v29, v248, v250, s[74:75]                // 000000009AEC: D100001D 012BF5F8
	v_and_or_b32 v84, v29, v249, v28                           // 000000009AF4: D2010054 0473F31D
	v_accvgpr_read_b32 v30, a234                               // 000000009AFC: D3D8401E 180001EA
	v_accvgpr_read_b32 v31, a235                               // 000000009B04: D3D8401F 180001EB
	v_mul_f32_e32 v30, s48, v30                                // 000000009B0C: 0A3C3C30
	v_mul_f32_e32 v31, s48, v31                                // 000000009B10: 0A3E3E30
	v_cmp_u_f32_e64 s[74:75], v30, v30                         // 000000009B14: D048004A 00023D1E
	v_bfe_u32 v248, v30, 16, 1                                 // 000000009B1C: D1C800F8 0205211E
	v_add3_u32 v248, v30, v248, v251                           // 000000009B24: D1FF00F8 07EFF11E
	v_cndmask_b32_e64 v28, v248, v250, s[74:75]                // 000000009B2C: D100001C 012BF5F8
	v_lshrrev_b32_e32 v28, 16, v28                             // 000000009B34: 20383890
	v_cmp_u_f32_e64 s[74:75], v31, v31                         // 000000009B38: D048004A 00023F1F
	v_bfe_u32 v248, v31, 16, 1                                 // 000000009B40: D1C800F8 0205211F
	v_add3_u32 v248, v31, v248, v251                           // 000000009B48: D1FF00F8 07EFF11F
	v_cndmask_b32_e64 v29, v248, v250, s[74:75]                // 000000009B50: D100001D 012BF5F8
	v_and_or_b32 v85, v29, v249, v28                           // 000000009B58: D2010055 0473F31D
	v_accvgpr_read_b32 v30, a236                               // 000000009B60: D3D8401E 180001EC
	v_accvgpr_read_b32 v31, a237                               // 000000009B68: D3D8401F 180001ED
	v_mul_f32_e32 v30, s48, v30                                // 000000009B70: 0A3C3C30
	v_mul_f32_e32 v31, s48, v31                                // 000000009B74: 0A3E3E30
	v_cmp_u_f32_e64 s[74:75], v30, v30                         // 000000009B78: D048004A 00023D1E
	v_bfe_u32 v248, v30, 16, 1                                 // 000000009B80: D1C800F8 0205211E
	v_add3_u32 v248, v30, v248, v251                           // 000000009B88: D1FF00F8 07EFF11E
	v_cndmask_b32_e64 v28, v248, v250, s[74:75]                // 000000009B90: D100001C 012BF5F8
	v_lshrrev_b32_e32 v28, 16, v28                             // 000000009B98: 20383890
	v_cmp_u_f32_e64 s[74:75], v31, v31                         // 000000009B9C: D048004A 00023F1F
	v_bfe_u32 v248, v31, 16, 1                                 // 000000009BA4: D1C800F8 0205211F
	v_add3_u32 v248, v31, v248, v251                           // 000000009BAC: D1FF00F8 07EFF11F
	v_cndmask_b32_e64 v29, v248, v250, s[74:75]                // 000000009BB4: D100001D 012BF5F8
	v_and_or_b32 v86, v29, v249, v28                           // 000000009BBC: D2010056 0473F31D
	v_accvgpr_read_b32 v30, a238                               // 000000009BC4: D3D8401E 180001EE
	v_accvgpr_read_b32 v31, a239                               // 000000009BCC: D3D8401F 180001EF
	v_mul_f32_e32 v30, s48, v30                                // 000000009BD4: 0A3C3C30
	v_mul_f32_e32 v31, s48, v31                                // 000000009BD8: 0A3E3E30
	v_cmp_u_f32_e64 s[74:75], v30, v30                         // 000000009BDC: D048004A 00023D1E
	v_bfe_u32 v248, v30, 16, 1                                 // 000000009BE4: D1C800F8 0205211E
	v_add3_u32 v248, v30, v248, v251                           // 000000009BEC: D1FF00F8 07EFF11E
	v_cndmask_b32_e64 v28, v248, v250, s[74:75]                // 000000009BF4: D100001C 012BF5F8
	v_lshrrev_b32_e32 v28, 16, v28                             // 000000009BFC: 20383890
	v_cmp_u_f32_e64 s[74:75], v31, v31                         // 000000009C00: D048004A 00023F1F
	v_bfe_u32 v248, v31, 16, 1                                 // 000000009C08: D1C800F8 0205211F
	v_add3_u32 v248, v31, v248, v251                           // 000000009C10: D1FF00F8 07EFF11F
	v_cndmask_b32_e64 v29, v248, v250, s[74:75]                // 000000009C18: D100001D 012BF5F8
	v_and_or_b32 v87, v29, v249, v28                           // 000000009C20: D2010057 0473F31D
	v_accvgpr_read_b32 v30, a240                               // 000000009C28: D3D8401E 180001F0
	v_accvgpr_read_b32 v31, a241                               // 000000009C30: D3D8401F 180001F1
	v_mul_f32_e32 v30, s48, v30                                // 000000009C38: 0A3C3C30
	v_mul_f32_e32 v31, s48, v31                                // 000000009C3C: 0A3E3E30
	v_cmp_u_f32_e64 s[74:75], v30, v30                         // 000000009C40: D048004A 00023D1E
	v_bfe_u32 v248, v30, 16, 1                                 // 000000009C48: D1C800F8 0205211E
	v_add3_u32 v248, v30, v248, v251                           // 000000009C50: D1FF00F8 07EFF11E
	v_cndmask_b32_e64 v28, v248, v250, s[74:75]                // 000000009C58: D100001C 012BF5F8
	v_lshrrev_b32_e32 v28, 16, v28                             // 000000009C60: 20383890
	v_cmp_u_f32_e64 s[74:75], v31, v31                         // 000000009C64: D048004A 00023F1F
	v_bfe_u32 v248, v31, 16, 1                                 // 000000009C6C: D1C800F8 0205211F
	v_add3_u32 v248, v31, v248, v251                           // 000000009C74: D1FF00F8 07EFF11F
	v_cndmask_b32_e64 v29, v248, v250, s[74:75]                // 000000009C7C: D100001D 012BF5F8
	v_and_or_b32 v88, v29, v249, v28                           // 000000009C84: D2010058 0473F31D
	v_accvgpr_read_b32 v30, a242                               // 000000009C8C: D3D8401E 180001F2
	v_accvgpr_read_b32 v31, a243                               // 000000009C94: D3D8401F 180001F3
	v_mul_f32_e32 v30, s48, v30                                // 000000009C9C: 0A3C3C30
	v_mul_f32_e32 v31, s48, v31                                // 000000009CA0: 0A3E3E30
	v_cmp_u_f32_e64 s[74:75], v30, v30                         // 000000009CA4: D048004A 00023D1E
	v_bfe_u32 v248, v30, 16, 1                                 // 000000009CAC: D1C800F8 0205211E
	v_add3_u32 v248, v30, v248, v251                           // 000000009CB4: D1FF00F8 07EFF11E
	v_cndmask_b32_e64 v28, v248, v250, s[74:75]                // 000000009CBC: D100001C 012BF5F8
	v_lshrrev_b32_e32 v28, 16, v28                             // 000000009CC4: 20383890
	v_cmp_u_f32_e64 s[74:75], v31, v31                         // 000000009CC8: D048004A 00023F1F
	v_bfe_u32 v248, v31, 16, 1                                 // 000000009CD0: D1C800F8 0205211F
	v_add3_u32 v248, v31, v248, v251                           // 000000009CD8: D1FF00F8 07EFF11F
	v_cndmask_b32_e64 v29, v248, v250, s[74:75]                // 000000009CE0: D100001D 012BF5F8
	v_and_or_b32 v89, v29, v249, v28                           // 000000009CE8: D2010059 0473F31D
	v_accvgpr_read_b32 v30, a244                               // 000000009CF0: D3D8401E 180001F4
	v_accvgpr_read_b32 v31, a245                               // 000000009CF8: D3D8401F 180001F5
	v_mul_f32_e32 v30, s48, v30                                // 000000009D00: 0A3C3C30
	v_mul_f32_e32 v31, s48, v31                                // 000000009D04: 0A3E3E30
	v_cmp_u_f32_e64 s[74:75], v30, v30                         // 000000009D08: D048004A 00023D1E
	v_bfe_u32 v248, v30, 16, 1                                 // 000000009D10: D1C800F8 0205211E
	v_add3_u32 v248, v30, v248, v251                           // 000000009D18: D1FF00F8 07EFF11E
	v_cndmask_b32_e64 v28, v248, v250, s[74:75]                // 000000009D20: D100001C 012BF5F8
	v_lshrrev_b32_e32 v28, 16, v28                             // 000000009D28: 20383890
	v_cmp_u_f32_e64 s[74:75], v31, v31                         // 000000009D2C: D048004A 00023F1F
	v_bfe_u32 v248, v31, 16, 1                                 // 000000009D34: D1C800F8 0205211F
	v_add3_u32 v248, v31, v248, v251                           // 000000009D3C: D1FF00F8 07EFF11F
	v_cndmask_b32_e64 v29, v248, v250, s[74:75]                // 000000009D44: D100001D 012BF5F8
	v_and_or_b32 v90, v29, v249, v28                           // 000000009D4C: D201005A 0473F31D
	v_accvgpr_read_b32 v30, a246                               // 000000009D54: D3D8401E 180001F6
	v_accvgpr_read_b32 v31, a247                               // 000000009D5C: D3D8401F 180001F7
	v_mul_f32_e32 v30, s48, v30                                // 000000009D64: 0A3C3C30
	v_mul_f32_e32 v31, s48, v31                                // 000000009D68: 0A3E3E30
	v_cmp_u_f32_e64 s[74:75], v30, v30                         // 000000009D6C: D048004A 00023D1E
	v_bfe_u32 v248, v30, 16, 1                                 // 000000009D74: D1C800F8 0205211E
	v_add3_u32 v248, v30, v248, v251                           // 000000009D7C: D1FF00F8 07EFF11E
	v_cndmask_b32_e64 v28, v248, v250, s[74:75]                // 000000009D84: D100001C 012BF5F8
	v_lshrrev_b32_e32 v28, 16, v28                             // 000000009D8C: 20383890
	v_cmp_u_f32_e64 s[74:75], v31, v31                         // 000000009D90: D048004A 00023F1F
	v_bfe_u32 v248, v31, 16, 1                                 // 000000009D98: D1C800F8 0205211F
	v_add3_u32 v248, v31, v248, v251                           // 000000009DA0: D1FF00F8 07EFF11F
	v_cndmask_b32_e64 v29, v248, v250, s[74:75]                // 000000009DA8: D100001D 012BF5F8
	v_and_or_b32 v91, v29, v249, v28                           // 000000009DB0: D201005B 0473F31D
	v_accvgpr_read_b32 v30, a248                               // 000000009DB8: D3D8401E 180001F8
	v_accvgpr_read_b32 v31, a249                               // 000000009DC0: D3D8401F 180001F9
	v_mul_f32_e32 v30, s48, v30                                // 000000009DC8: 0A3C3C30
	v_mul_f32_e32 v31, s48, v31                                // 000000009DCC: 0A3E3E30
	v_cmp_u_f32_e64 s[74:75], v30, v30                         // 000000009DD0: D048004A 00023D1E
	v_bfe_u32 v248, v30, 16, 1                                 // 000000009DD8: D1C800F8 0205211E
	v_add3_u32 v248, v30, v248, v251                           // 000000009DE0: D1FF00F8 07EFF11E
	v_cndmask_b32_e64 v28, v248, v250, s[74:75]                // 000000009DE8: D100001C 012BF5F8
	v_lshrrev_b32_e32 v28, 16, v28                             // 000000009DF0: 20383890
	v_cmp_u_f32_e64 s[74:75], v31, v31                         // 000000009DF4: D048004A 00023F1F
	v_bfe_u32 v248, v31, 16, 1                                 // 000000009DFC: D1C800F8 0205211F
	v_add3_u32 v248, v31, v248, v251                           // 000000009E04: D1FF00F8 07EFF11F
	v_cndmask_b32_e64 v29, v248, v250, s[74:75]                // 000000009E0C: D100001D 012BF5F8
	v_and_or_b32 v92, v29, v249, v28                           // 000000009E14: D201005C 0473F31D
	v_accvgpr_read_b32 v30, a250                               // 000000009E1C: D3D8401E 180001FA
	v_accvgpr_read_b32 v31, a251                               // 000000009E24: D3D8401F 180001FB
	v_mul_f32_e32 v30, s48, v30                                // 000000009E2C: 0A3C3C30
	v_mul_f32_e32 v31, s48, v31                                // 000000009E30: 0A3E3E30
	v_cmp_u_f32_e64 s[74:75], v30, v30                         // 000000009E34: D048004A 00023D1E
	v_bfe_u32 v248, v30, 16, 1                                 // 000000009E3C: D1C800F8 0205211E
	v_add3_u32 v248, v30, v248, v251                           // 000000009E44: D1FF00F8 07EFF11E
	v_cndmask_b32_e64 v28, v248, v250, s[74:75]                // 000000009E4C: D100001C 012BF5F8
	v_lshrrev_b32_e32 v28, 16, v28                             // 000000009E54: 20383890
	v_cmp_u_f32_e64 s[74:75], v31, v31                         // 000000009E58: D048004A 00023F1F
	v_bfe_u32 v248, v31, 16, 1                                 // 000000009E60: D1C800F8 0205211F
	v_add3_u32 v248, v31, v248, v251                           // 000000009E68: D1FF00F8 07EFF11F
	v_cndmask_b32_e64 v29, v248, v250, s[74:75]                // 000000009E70: D100001D 012BF5F8
	v_and_or_b32 v93, v29, v249, v28                           // 000000009E78: D201005D 0473F31D
	v_accvgpr_read_b32 v30, a252                               // 000000009E80: D3D8401E 180001FC
	v_accvgpr_read_b32 v31, a253                               // 000000009E88: D3D8401F 180001FD
	v_mul_f32_e32 v30, s48, v30                                // 000000009E90: 0A3C3C30
	v_mul_f32_e32 v31, s48, v31                                // 000000009E94: 0A3E3E30
	v_cmp_u_f32_e64 s[74:75], v30, v30                         // 000000009E98: D048004A 00023D1E
	v_bfe_u32 v248, v30, 16, 1                                 // 000000009EA0: D1C800F8 0205211E
	v_add3_u32 v248, v30, v248, v251                           // 000000009EA8: D1FF00F8 07EFF11E
	v_cndmask_b32_e64 v28, v248, v250, s[74:75]                // 000000009EB0: D100001C 012BF5F8
	v_lshrrev_b32_e32 v28, 16, v28                             // 000000009EB8: 20383890
	v_cmp_u_f32_e64 s[74:75], v31, v31                         // 000000009EBC: D048004A 00023F1F
	v_bfe_u32 v248, v31, 16, 1                                 // 000000009EC4: D1C800F8 0205211F
	v_add3_u32 v248, v31, v248, v251                           // 000000009ECC: D1FF00F8 07EFF11F
	v_cndmask_b32_e64 v29, v248, v250, s[74:75]                // 000000009ED4: D100001D 012BF5F8
	v_and_or_b32 v94, v29, v249, v28                           // 000000009EDC: D201005E 0473F31D
	v_accvgpr_read_b32 v30, a254                               // 000000009EE4: D3D8401E 180001FE
	v_accvgpr_read_b32 v31, a255                               // 000000009EEC: D3D8401F 180001FF
	v_mul_f32_e32 v30, s48, v30                                // 000000009EF4: 0A3C3C30
	v_mul_f32_e32 v31, s48, v31                                // 000000009EF8: 0A3E3E30
	v_cmp_u_f32_e64 s[74:75], v30, v30                         // 000000009EFC: D048004A 00023D1E
	v_bfe_u32 v248, v30, 16, 1                                 // 000000009F04: D1C800F8 0205211E
	v_add3_u32 v248, v30, v248, v251                           // 000000009F0C: D1FF00F8 07EFF11E
	v_cndmask_b32_e64 v28, v248, v250, s[74:75]                // 000000009F14: D100001C 012BF5F8
	v_lshrrev_b32_e32 v28, 16, v28                             // 000000009F1C: 20383890
	v_cmp_u_f32_e64 s[74:75], v31, v31                         // 000000009F20: D048004A 00023F1F
	v_bfe_u32 v248, v31, 16, 1                                 // 000000009F28: D1C800F8 0205211F
	v_add3_u32 v248, v31, v248, v251                           // 000000009F30: D1FF00F8 07EFF11F
	v_cndmask_b32_e64 v29, v248, v250, s[74:75]                // 000000009F38: D100001D 012BF5F8
	v_and_or_b32 v95, v29, v249, v28                           // 000000009F40: D201005F 0473F31D
	ds_write_b64 v25, v[80:81] offset:33792                    // 000000009F48: D89A8400 00005019
	ds_write_b64 v25, v[82:83] offset:34320                    // 000000009F50: D89A8610 00005219
	ds_write_b64 v25, v[84:85] offset:34848                    // 000000009F58: D89A8820 00005419
	ds_write_b64 v25, v[86:87] offset:35376                    // 000000009F60: D89A8A30 00005619
	ds_write_b64 v25, v[88:89] offset:35904                    // 000000009F68: D89A8C40 00005819
	ds_write_b64 v25, v[90:91] offset:36432                    // 000000009F70: D89A8E50 00005A19
	ds_write_b64 v25, v[92:93] offset:36960                    // 000000009F78: D89A9060 00005C19
	ds_write_b64 v25, v[94:95] offset:37488                    // 000000009F80: D89A9270 00005E19
	s_waitcnt lgkmcnt(0)                                       // 000000009F88: BF8CC07F
	s_barrier                                                  // 000000009F8C: BF8A0000
	ds_read_b64 v[80:81], v24 offset:33792                     // 000000009F90: D8EC8400 50000018
	ds_read_b64 v[82:83], v24 offset:33920                     // 000000009F98: D8EC8480 52000018
	ds_read_b64 v[84:85], v24 offset:33824                     // 000000009FA0: D8EC8420 54000018
	ds_read_b64 v[86:87], v24 offset:33952                     // 000000009FA8: D8EC84A0 56000018
	ds_read_b64 v[88:89], v24 offset:33856                     // 000000009FB0: D8EC8440 58000018
	ds_read_b64 v[90:91], v24 offset:33984                     // 000000009FB8: D8EC84C0 5A000018
	ds_read_b64 v[92:93], v24 offset:33888                     // 000000009FC0: D8EC8460 5C000018
	ds_read_b64 v[94:95], v24 offset:34016                     // 000000009FC8: D8EC84E0 5E000018
	s_waitcnt lgkmcnt(0)                                       // 000000009FD0: BF8CC07F
	buffer_store_dwordx4 v[80:83], v5, s[36:39], 0 idxen       // 000000009FD4: E07C2000 80095005
	v_add_u32_e32 v5, s46, v5                                  // 000000009FDC: 680A0A2E
	buffer_store_dwordx4 v[84:87], v5, s[36:39], 0 idxen       // 000000009FE0: E07C2000 80095405
	v_add_u32_e32 v5, s46, v5                                  // 000000009FE8: 680A0A2E
	buffer_store_dwordx4 v[88:91], v5, s[36:39], 0 idxen       // 000000009FEC: E07C2000 80095805
	v_add_u32_e32 v5, s46, v5                                  // 000000009FF4: 680A0A2E
	buffer_store_dwordx4 v[92:95], v5, s[36:39], 0 idxen       // 000000009FF8: E07C2000 80095C05
	v_add_u32_e32 v5, s46, v5                                  // 00000000A000: 680A0A2E
	s_mul_i32 s60, 12, s46                                     // 00000000A004: 923C2E8C
	v_add_u32_e32 v5, s60, v5                                  // 00000000A008: 680A0A3C
	s_barrier                                                  // 00000000A00C: BF8A0000
	s_cmp_ge_i32 3, s73                                        // 00000000A010: BF034983
	s_cbranch_scc1 label_1886                                  // 00000000A014: BF850000

000000000000a018 <label_1886>:
	v_mov_b32_e32 v30, v152                                    // 00000000A018: 7E3C0398
	v_mov_b32_e32 v31, v153                                    // 00000000A01C: 7E3E0399
	v_cmp_u_f32_e64 s[74:75], v30, v30                         // 00000000A020: D048004A 00023D1E
	v_bfe_u32 v248, v30, 16, 1                                 // 00000000A028: D1C800F8 0205211E
	v_add3_u32 v248, v30, v248, v251                           // 00000000A030: D1FF00F8 07EFF11E
	v_cndmask_b32_e64 v28, v248, v250, s[74:75]                // 00000000A038: D100001C 012BF5F8
	v_lshrrev_b32_e32 v28, 16, v28                             // 00000000A040: 20383890
	v_cmp_u_f32_e64 s[74:75], v31, v31                         // 00000000A044: D048004A 00023F1F
	v_bfe_u32 v248, v31, 16, 1                                 // 00000000A04C: D1C800F8 0205211F
	v_add3_u32 v248, v31, v248, v251                           // 00000000A054: D1FF00F8 07EFF11F
	v_cndmask_b32_e64 v29, v248, v250, s[74:75]                // 00000000A05C: D100001D 012BF5F8
	v_and_or_b32 v152, v29, v249, v28                          // 00000000A064: D2010098 0473F31D
	v_mov_b32_e32 v30, v154                                    // 00000000A06C: 7E3C039A
	v_mov_b32_e32 v31, v155                                    // 00000000A070: 7E3E039B
	v_cmp_u_f32_e64 s[74:75], v30, v30                         // 00000000A074: D048004A 00023D1E
	v_bfe_u32 v248, v30, 16, 1                                 // 00000000A07C: D1C800F8 0205211E
	v_add3_u32 v248, v30, v248, v251                           // 00000000A084: D1FF00F8 07EFF11E
	v_cndmask_b32_e64 v28, v248, v250, s[74:75]                // 00000000A08C: D100001C 012BF5F8
	v_lshrrev_b32_e32 v28, 16, v28                             // 00000000A094: 20383890
	v_cmp_u_f32_e64 s[74:75], v31, v31                         // 00000000A098: D048004A 00023F1F
	v_bfe_u32 v248, v31, 16, 1                                 // 00000000A0A0: D1C800F8 0205211F
	v_add3_u32 v248, v31, v248, v251                           // 00000000A0A8: D1FF00F8 07EFF11F
	v_cndmask_b32_e64 v29, v248, v250, s[74:75]                // 00000000A0B0: D100001D 012BF5F8
	v_and_or_b32 v153, v29, v249, v28                          // 00000000A0B8: D2010099 0473F31D
	v_mov_b32_e32 v30, v156                                    // 00000000A0C0: 7E3C039C
	v_mov_b32_e32 v31, v157                                    // 00000000A0C4: 7E3E039D
	v_cmp_u_f32_e64 s[74:75], v30, v30                         // 00000000A0C8: D048004A 00023D1E
	v_bfe_u32 v248, v30, 16, 1                                 // 00000000A0D0: D1C800F8 0205211E
	v_add3_u32 v248, v30, v248, v251                           // 00000000A0D8: D1FF00F8 07EFF11E
	v_cndmask_b32_e64 v28, v248, v250, s[74:75]                // 00000000A0E0: D100001C 012BF5F8
	v_lshrrev_b32_e32 v28, 16, v28                             // 00000000A0E8: 20383890
	v_cmp_u_f32_e64 s[74:75], v31, v31                         // 00000000A0EC: D048004A 00023F1F
	v_bfe_u32 v248, v31, 16, 1                                 // 00000000A0F4: D1C800F8 0205211F
	v_add3_u32 v248, v31, v248, v251                           // 00000000A0FC: D1FF00F8 07EFF11F
	v_cndmask_b32_e64 v29, v248, v250, s[74:75]                // 00000000A104: D100001D 012BF5F8
	v_and_or_b32 v154, v29, v249, v28                          // 00000000A10C: D201009A 0473F31D
	v_mov_b32_e32 v30, v158                                    // 00000000A114: 7E3C039E
	v_mov_b32_e32 v31, v159                                    // 00000000A118: 7E3E039F
	v_cmp_u_f32_e64 s[74:75], v30, v30                         // 00000000A11C: D048004A 00023D1E
	v_bfe_u32 v248, v30, 16, 1                                 // 00000000A124: D1C800F8 0205211E
	v_add3_u32 v248, v30, v248, v251                           // 00000000A12C: D1FF00F8 07EFF11E
	v_cndmask_b32_e64 v28, v248, v250, s[74:75]                // 00000000A134: D100001C 012BF5F8
	v_lshrrev_b32_e32 v28, 16, v28                             // 00000000A13C: 20383890
	v_cmp_u_f32_e64 s[74:75], v31, v31                         // 00000000A140: D048004A 00023F1F
	v_bfe_u32 v248, v31, 16, 1                                 // 00000000A148: D1C800F8 0205211F
	v_add3_u32 v248, v31, v248, v251                           // 00000000A150: D1FF00F8 07EFF11F
	v_cndmask_b32_e64 v29, v248, v250, s[74:75]                // 00000000A158: D100001D 012BF5F8
	v_and_or_b32 v155, v29, v249, v28                          // 00000000A160: D201009B 0473F31D
	v_mov_b32_e32 v30, v160                                    // 00000000A168: 7E3C03A0
	v_mov_b32_e32 v31, v161                                    // 00000000A16C: 7E3E03A1
	v_cmp_u_f32_e64 s[74:75], v30, v30                         // 00000000A170: D048004A 00023D1E
	v_bfe_u32 v248, v30, 16, 1                                 // 00000000A178: D1C800F8 0205211E
	v_add3_u32 v248, v30, v248, v251                           // 00000000A180: D1FF00F8 07EFF11E
	v_cndmask_b32_e64 v28, v248, v250, s[74:75]                // 00000000A188: D100001C 012BF5F8
	v_lshrrev_b32_e32 v28, 16, v28                             // 00000000A190: 20383890
	v_cmp_u_f32_e64 s[74:75], v31, v31                         // 00000000A194: D048004A 00023F1F
	v_bfe_u32 v248, v31, 16, 1                                 // 00000000A19C: D1C800F8 0205211F
	v_add3_u32 v248, v31, v248, v251                           // 00000000A1A4: D1FF00F8 07EFF11F
	v_cndmask_b32_e64 v29, v248, v250, s[74:75]                // 00000000A1AC: D100001D 012BF5F8
	v_and_or_b32 v156, v29, v249, v28                          // 00000000A1B4: D201009C 0473F31D
	v_mov_b32_e32 v30, v162                                    // 00000000A1BC: 7E3C03A2
	v_mov_b32_e32 v31, v163                                    // 00000000A1C0: 7E3E03A3
	v_cmp_u_f32_e64 s[74:75], v30, v30                         // 00000000A1C4: D048004A 00023D1E
	v_bfe_u32 v248, v30, 16, 1                                 // 00000000A1CC: D1C800F8 0205211E
	v_add3_u32 v248, v30, v248, v251                           // 00000000A1D4: D1FF00F8 07EFF11E
	v_cndmask_b32_e64 v28, v248, v250, s[74:75]                // 00000000A1DC: D100001C 012BF5F8
	v_lshrrev_b32_e32 v28, 16, v28                             // 00000000A1E4: 20383890
	v_cmp_u_f32_e64 s[74:75], v31, v31                         // 00000000A1E8: D048004A 00023F1F
	v_bfe_u32 v248, v31, 16, 1                                 // 00000000A1F0: D1C800F8 0205211F
	v_add3_u32 v248, v31, v248, v251                           // 00000000A1F8: D1FF00F8 07EFF11F
	v_cndmask_b32_e64 v29, v248, v250, s[74:75]                // 00000000A200: D100001D 012BF5F8
	v_and_or_b32 v157, v29, v249, v28                          // 00000000A208: D201009D 0473F31D
	v_mov_b32_e32 v30, v164                                    // 00000000A210: 7E3C03A4
	v_mov_b32_e32 v31, v165                                    // 00000000A214: 7E3E03A5
	v_cmp_u_f32_e64 s[74:75], v30, v30                         // 00000000A218: D048004A 00023D1E
	v_bfe_u32 v248, v30, 16, 1                                 // 00000000A220: D1C800F8 0205211E
	v_add3_u32 v248, v30, v248, v251                           // 00000000A228: D1FF00F8 07EFF11E
	v_cndmask_b32_e64 v28, v248, v250, s[74:75]                // 00000000A230: D100001C 012BF5F8
	v_lshrrev_b32_e32 v28, 16, v28                             // 00000000A238: 20383890
	v_cmp_u_f32_e64 s[74:75], v31, v31                         // 00000000A23C: D048004A 00023F1F
	v_bfe_u32 v248, v31, 16, 1                                 // 00000000A244: D1C800F8 0205211F
	v_add3_u32 v248, v31, v248, v251                           // 00000000A24C: D1FF00F8 07EFF11F
	v_cndmask_b32_e64 v29, v248, v250, s[74:75]                // 00000000A254: D100001D 012BF5F8
	v_and_or_b32 v158, v29, v249, v28                          // 00000000A25C: D201009E 0473F31D
	v_mov_b32_e32 v30, v166                                    // 00000000A264: 7E3C03A6
	v_mov_b32_e32 v31, v167                                    // 00000000A268: 7E3E03A7
	v_cmp_u_f32_e64 s[74:75], v30, v30                         // 00000000A26C: D048004A 00023D1E
	v_bfe_u32 v248, v30, 16, 1                                 // 00000000A274: D1C800F8 0205211E
	v_add3_u32 v248, v30, v248, v251                           // 00000000A27C: D1FF00F8 07EFF11E
	v_cndmask_b32_e64 v28, v248, v250, s[74:75]                // 00000000A284: D100001C 012BF5F8
	v_lshrrev_b32_e32 v28, 16, v28                             // 00000000A28C: 20383890
	v_cmp_u_f32_e64 s[74:75], v31, v31                         // 00000000A290: D048004A 00023F1F
	v_bfe_u32 v248, v31, 16, 1                                 // 00000000A298: D1C800F8 0205211F
	v_add3_u32 v248, v31, v248, v251                           // 00000000A2A0: D1FF00F8 07EFF11F
	v_cndmask_b32_e64 v29, v248, v250, s[74:75]                // 00000000A2A8: D100001D 012BF5F8
	v_and_or_b32 v159, v29, v249, v28                          // 00000000A2B0: D201009F 0473F31D
	v_mov_b32_e32 v30, v168                                    // 00000000A2B8: 7E3C03A8
	v_mov_b32_e32 v31, v169                                    // 00000000A2BC: 7E3E03A9
	v_cmp_u_f32_e64 s[74:75], v30, v30                         // 00000000A2C0: D048004A 00023D1E
	v_bfe_u32 v248, v30, 16, 1                                 // 00000000A2C8: D1C800F8 0205211E
	v_add3_u32 v248, v30, v248, v251                           // 00000000A2D0: D1FF00F8 07EFF11E
	v_cndmask_b32_e64 v28, v248, v250, s[74:75]                // 00000000A2D8: D100001C 012BF5F8
	v_lshrrev_b32_e32 v28, 16, v28                             // 00000000A2E0: 20383890
	v_cmp_u_f32_e64 s[74:75], v31, v31                         // 00000000A2E4: D048004A 00023F1F
	v_bfe_u32 v248, v31, 16, 1                                 // 00000000A2EC: D1C800F8 0205211F
	v_add3_u32 v248, v31, v248, v251                           // 00000000A2F4: D1FF00F8 07EFF11F
	v_cndmask_b32_e64 v29, v248, v250, s[74:75]                // 00000000A2FC: D100001D 012BF5F8
	v_and_or_b32 v160, v29, v249, v28                          // 00000000A304: D20100A0 0473F31D
	v_mov_b32_e32 v30, v170                                    // 00000000A30C: 7E3C03AA
	v_mov_b32_e32 v31, v171                                    // 00000000A310: 7E3E03AB
	v_cmp_u_f32_e64 s[74:75], v30, v30                         // 00000000A314: D048004A 00023D1E
	v_bfe_u32 v248, v30, 16, 1                                 // 00000000A31C: D1C800F8 0205211E
	v_add3_u32 v248, v30, v248, v251                           // 00000000A324: D1FF00F8 07EFF11E
	v_cndmask_b32_e64 v28, v248, v250, s[74:75]                // 00000000A32C: D100001C 012BF5F8
	v_lshrrev_b32_e32 v28, 16, v28                             // 00000000A334: 20383890
	v_cmp_u_f32_e64 s[74:75], v31, v31                         // 00000000A338: D048004A 00023F1F
	v_bfe_u32 v248, v31, 16, 1                                 // 00000000A340: D1C800F8 0205211F
	v_add3_u32 v248, v31, v248, v251                           // 00000000A348: D1FF00F8 07EFF11F
	v_cndmask_b32_e64 v29, v248, v250, s[74:75]                // 00000000A350: D100001D 012BF5F8
	v_and_or_b32 v161, v29, v249, v28                          // 00000000A358: D20100A1 0473F31D
	v_mov_b32_e32 v30, v172                                    // 00000000A360: 7E3C03AC
	v_mov_b32_e32 v31, v173                                    // 00000000A364: 7E3E03AD
	v_cmp_u_f32_e64 s[74:75], v30, v30                         // 00000000A368: D048004A 00023D1E
	v_bfe_u32 v248, v30, 16, 1                                 // 00000000A370: D1C800F8 0205211E
	v_add3_u32 v248, v30, v248, v251                           // 00000000A378: D1FF00F8 07EFF11E
	v_cndmask_b32_e64 v28, v248, v250, s[74:75]                // 00000000A380: D100001C 012BF5F8
	v_lshrrev_b32_e32 v28, 16, v28                             // 00000000A388: 20383890
	v_cmp_u_f32_e64 s[74:75], v31, v31                         // 00000000A38C: D048004A 00023F1F
	v_bfe_u32 v248, v31, 16, 1                                 // 00000000A394: D1C800F8 0205211F
	v_add3_u32 v248, v31, v248, v251                           // 00000000A39C: D1FF00F8 07EFF11F
	v_cndmask_b32_e64 v29, v248, v250, s[74:75]                // 00000000A3A4: D100001D 012BF5F8
	v_and_or_b32 v162, v29, v249, v28                          // 00000000A3AC: D20100A2 0473F31D
	v_mov_b32_e32 v30, v174                                    // 00000000A3B4: 7E3C03AE
	v_mov_b32_e32 v31, v175                                    // 00000000A3B8: 7E3E03AF
	v_cmp_u_f32_e64 s[74:75], v30, v30                         // 00000000A3BC: D048004A 00023D1E
	v_bfe_u32 v248, v30, 16, 1                                 // 00000000A3C4: D1C800F8 0205211E
	v_add3_u32 v248, v30, v248, v251                           // 00000000A3CC: D1FF00F8 07EFF11E
	v_cndmask_b32_e64 v28, v248, v250, s[74:75]                // 00000000A3D4: D100001C 012BF5F8
	v_lshrrev_b32_e32 v28, 16, v28                             // 00000000A3DC: 20383890
	v_cmp_u_f32_e64 s[74:75], v31, v31                         // 00000000A3E0: D048004A 00023F1F
	v_bfe_u32 v248, v31, 16, 1                                 // 00000000A3E8: D1C800F8 0205211F
	v_add3_u32 v248, v31, v248, v251                           // 00000000A3F0: D1FF00F8 07EFF11F
	v_cndmask_b32_e64 v29, v248, v250, s[74:75]                // 00000000A3F8: D100001D 012BF5F8
	v_and_or_b32 v163, v29, v249, v28                          // 00000000A400: D20100A3 0473F31D
	v_mov_b32_e32 v30, v176                                    // 00000000A408: 7E3C03B0
	v_mov_b32_e32 v31, v177                                    // 00000000A40C: 7E3E03B1
	v_cmp_u_f32_e64 s[74:75], v30, v30                         // 00000000A410: D048004A 00023D1E
	v_bfe_u32 v248, v30, 16, 1                                 // 00000000A418: D1C800F8 0205211E
	v_add3_u32 v248, v30, v248, v251                           // 00000000A420: D1FF00F8 07EFF11E
	v_cndmask_b32_e64 v28, v248, v250, s[74:75]                // 00000000A428: D100001C 012BF5F8
	v_lshrrev_b32_e32 v28, 16, v28                             // 00000000A430: 20383890
	v_cmp_u_f32_e64 s[74:75], v31, v31                         // 00000000A434: D048004A 00023F1F
	v_bfe_u32 v248, v31, 16, 1                                 // 00000000A43C: D1C800F8 0205211F
	v_add3_u32 v248, v31, v248, v251                           // 00000000A444: D1FF00F8 07EFF11F
	v_cndmask_b32_e64 v29, v248, v250, s[74:75]                // 00000000A44C: D100001D 012BF5F8
	v_and_or_b32 v164, v29, v249, v28                          // 00000000A454: D20100A4 0473F31D
	v_mov_b32_e32 v30, v178                                    // 00000000A45C: 7E3C03B2
	v_mov_b32_e32 v31, v179                                    // 00000000A460: 7E3E03B3
	v_cmp_u_f32_e64 s[74:75], v30, v30                         // 00000000A464: D048004A 00023D1E
	v_bfe_u32 v248, v30, 16, 1                                 // 00000000A46C: D1C800F8 0205211E
	v_add3_u32 v248, v30, v248, v251                           // 00000000A474: D1FF00F8 07EFF11E
	v_cndmask_b32_e64 v28, v248, v250, s[74:75]                // 00000000A47C: D100001C 012BF5F8
	v_lshrrev_b32_e32 v28, 16, v28                             // 00000000A484: 20383890
	v_cmp_u_f32_e64 s[74:75], v31, v31                         // 00000000A488: D048004A 00023F1F
	v_bfe_u32 v248, v31, 16, 1                                 // 00000000A490: D1C800F8 0205211F
	v_add3_u32 v248, v31, v248, v251                           // 00000000A498: D1FF00F8 07EFF11F
	v_cndmask_b32_e64 v29, v248, v250, s[74:75]                // 00000000A4A0: D100001D 012BF5F8
	v_and_or_b32 v165, v29, v249, v28                          // 00000000A4A8: D20100A5 0473F31D
	v_mov_b32_e32 v30, v180                                    // 00000000A4B0: 7E3C03B4
	v_mov_b32_e32 v31, v181                                    // 00000000A4B4: 7E3E03B5
	v_cmp_u_f32_e64 s[74:75], v30, v30                         // 00000000A4B8: D048004A 00023D1E
	v_bfe_u32 v248, v30, 16, 1                                 // 00000000A4C0: D1C800F8 0205211E
	v_add3_u32 v248, v30, v248, v251                           // 00000000A4C8: D1FF00F8 07EFF11E
	v_cndmask_b32_e64 v28, v248, v250, s[74:75]                // 00000000A4D0: D100001C 012BF5F8
	v_lshrrev_b32_e32 v28, 16, v28                             // 00000000A4D8: 20383890
	v_cmp_u_f32_e64 s[74:75], v31, v31                         // 00000000A4DC: D048004A 00023F1F
	v_bfe_u32 v248, v31, 16, 1                                 // 00000000A4E4: D1C800F8 0205211F
	v_add3_u32 v248, v31, v248, v251                           // 00000000A4EC: D1FF00F8 07EFF11F
	v_cndmask_b32_e64 v29, v248, v250, s[74:75]                // 00000000A4F4: D100001D 012BF5F8
	v_and_or_b32 v166, v29, v249, v28                          // 00000000A4FC: D20100A6 0473F31D
	v_mov_b32_e32 v30, v182                                    // 00000000A504: 7E3C03B6
	v_mov_b32_e32 v31, v183                                    // 00000000A508: 7E3E03B7
	v_cmp_u_f32_e64 s[74:75], v30, v30                         // 00000000A50C: D048004A 00023D1E
	v_bfe_u32 v248, v30, 16, 1                                 // 00000000A514: D1C800F8 0205211E
	v_add3_u32 v248, v30, v248, v251                           // 00000000A51C: D1FF00F8 07EFF11E
	v_cndmask_b32_e64 v28, v248, v250, s[74:75]                // 00000000A524: D100001C 012BF5F8
	v_lshrrev_b32_e32 v28, 16, v28                             // 00000000A52C: 20383890
	v_cmp_u_f32_e64 s[74:75], v31, v31                         // 00000000A530: D048004A 00023F1F
	v_bfe_u32 v248, v31, 16, 1                                 // 00000000A538: D1C800F8 0205211F
	v_add3_u32 v248, v31, v248, v251                           // 00000000A540: D1FF00F8 07EFF11F
	v_cndmask_b32_e64 v29, v248, v250, s[74:75]                // 00000000A548: D100001D 012BF5F8
	v_and_or_b32 v167, v29, v249, v28                          // 00000000A550: D20100A7 0473F31D
	ds_write_b64 v25, v[152:153]                               // 00000000A558: D89A0000 00009819
	ds_write_b64 v25, v[154:155] offset:528                    // 00000000A560: D89A0210 00009A19
	ds_write_b64 v25, v[156:157] offset:1056                   // 00000000A568: D89A0420 00009C19
	ds_write_b64 v25, v[158:159] offset:1584                   // 00000000A570: D89A0630 00009E19
	ds_write_b64 v25, v[160:161] offset:2112                   // 00000000A578: D89A0840 0000A019
	ds_write_b64 v25, v[162:163] offset:2640                   // 00000000A580: D89A0A50 0000A219
	ds_write_b64 v25, v[164:165] offset:3168                   // 00000000A588: D89A0C60 0000A419
	ds_write_b64 v25, v[166:167] offset:3696                   // 00000000A590: D89A0E70 0000A619
	s_waitcnt lgkmcnt(0)                                       // 00000000A598: BF8CC07F
	s_barrier                                                  // 00000000A59C: BF8A0000
	ds_read_b64 v[152:153], v24                                // 00000000A5A0: D8EC0000 98000018
	ds_read_b64 v[154:155], v24 offset:128                     // 00000000A5A8: D8EC0080 9A000018
	ds_read_b64 v[156:157], v24 offset:32                      // 00000000A5B0: D8EC0020 9C000018
	ds_read_b64 v[158:159], v24 offset:160                     // 00000000A5B8: D8EC00A0 9E000018
	ds_read_b64 v[160:161], v24 offset:64                      // 00000000A5C0: D8EC0040 A0000018
	ds_read_b64 v[162:163], v24 offset:192                     // 00000000A5C8: D8EC00C0 A2000018
	ds_read_b64 v[164:165], v24 offset:96                      // 00000000A5D0: D8EC0060 A4000018
	ds_read_b64 v[166:167], v24 offset:224                     // 00000000A5D8: D8EC00E0 A6000018
	s_waitcnt lgkmcnt(0)                                       // 00000000A5E0: BF8CC07F
	buffer_store_dwordx4 v[152:155], v6, s[40:43], 0 idxen     // 00000000A5E4: E07C2000 800A9806
	v_add_u32_e32 v6, s46, v6                                  // 00000000A5EC: 680C0C2E
	buffer_store_dwordx4 v[156:159], v6, s[40:43], 0 idxen     // 00000000A5F0: E07C2000 800A9C06
	v_add_u32_e32 v6, s46, v6                                  // 00000000A5F8: 680C0C2E
	buffer_store_dwordx4 v[160:163], v6, s[40:43], 0 idxen     // 00000000A5FC: E07C2000 800AA006
	v_add_u32_e32 v6, s46, v6                                  // 00000000A604: 680C0C2E
	buffer_store_dwordx4 v[164:167], v6, s[40:43], 0 idxen     // 00000000A608: E07C2000 800AA406
	v_add_u32_e32 v6, s46, v6                                  // 00000000A610: 680C0C2E
	s_mul_i32 s60, 12, s46                                     // 00000000A614: 923C2E8C
	v_add_u32_e32 v6, s60, v6                                  // 00000000A618: 680C0C3C
	s_cmp_ge_i32 1, s73                                        // 00000000A61C: BF034981
	s_cbranch_scc1 label_1D0F                                  // 00000000A620: BF850306
	v_mov_b32_e32 v30, v184                                    // 00000000A624: 7E3C03B8
	v_mov_b32_e32 v31, v185                                    // 00000000A628: 7E3E03B9
	v_cmp_u_f32_e64 s[74:75], v30, v30                         // 00000000A62C: D048004A 00023D1E
	v_bfe_u32 v248, v30, 16, 1                                 // 00000000A634: D1C800F8 0205211E
	v_add3_u32 v248, v30, v248, v251                           // 00000000A63C: D1FF00F8 07EFF11E
	v_cndmask_b32_e64 v28, v248, v250, s[74:75]                // 00000000A644: D100001C 012BF5F8
	v_lshrrev_b32_e32 v28, 16, v28                             // 00000000A64C: 20383890
	v_cmp_u_f32_e64 s[74:75], v31, v31                         // 00000000A650: D048004A 00023F1F
	v_bfe_u32 v248, v31, 16, 1                                 // 00000000A658: D1C800F8 0205211F
	v_add3_u32 v248, v31, v248, v251                           // 00000000A660: D1FF00F8 07EFF11F
	v_cndmask_b32_e64 v29, v248, v250, s[74:75]                // 00000000A668: D100001D 012BF5F8
	v_and_or_b32 v168, v29, v249, v28                          // 00000000A670: D20100A8 0473F31D
	v_mov_b32_e32 v30, v186                                    // 00000000A678: 7E3C03BA
	v_mov_b32_e32 v31, v187                                    // 00000000A67C: 7E3E03BB
	v_cmp_u_f32_e64 s[74:75], v30, v30                         // 00000000A680: D048004A 00023D1E
	v_bfe_u32 v248, v30, 16, 1                                 // 00000000A688: D1C800F8 0205211E
	v_add3_u32 v248, v30, v248, v251                           // 00000000A690: D1FF00F8 07EFF11E
	v_cndmask_b32_e64 v28, v248, v250, s[74:75]                // 00000000A698: D100001C 012BF5F8
	v_lshrrev_b32_e32 v28, 16, v28                             // 00000000A6A0: 20383890
	v_cmp_u_f32_e64 s[74:75], v31, v31                         // 00000000A6A4: D048004A 00023F1F
	v_bfe_u32 v248, v31, 16, 1                                 // 00000000A6AC: D1C800F8 0205211F
	v_add3_u32 v248, v31, v248, v251                           // 00000000A6B4: D1FF00F8 07EFF11F
	v_cndmask_b32_e64 v29, v248, v250, s[74:75]                // 00000000A6BC: D100001D 012BF5F8
	v_and_or_b32 v169, v29, v249, v28                          // 00000000A6C4: D20100A9 0473F31D
	v_mov_b32_e32 v30, v188                                    // 00000000A6CC: 7E3C03BC
	v_mov_b32_e32 v31, v189                                    // 00000000A6D0: 7E3E03BD
	v_cmp_u_f32_e64 s[74:75], v30, v30                         // 00000000A6D4: D048004A 00023D1E
	v_bfe_u32 v248, v30, 16, 1                                 // 00000000A6DC: D1C800F8 0205211E
	v_add3_u32 v248, v30, v248, v251                           // 00000000A6E4: D1FF00F8 07EFF11E
	v_cndmask_b32_e64 v28, v248, v250, s[74:75]                // 00000000A6EC: D100001C 012BF5F8
	v_lshrrev_b32_e32 v28, 16, v28                             // 00000000A6F4: 20383890
	v_cmp_u_f32_e64 s[74:75], v31, v31                         // 00000000A6F8: D048004A 00023F1F
	v_bfe_u32 v248, v31, 16, 1                                 // 00000000A700: D1C800F8 0205211F
	v_add3_u32 v248, v31, v248, v251                           // 00000000A708: D1FF00F8 07EFF11F
	v_cndmask_b32_e64 v29, v248, v250, s[74:75]                // 00000000A710: D100001D 012BF5F8
	v_and_or_b32 v170, v29, v249, v28                          // 00000000A718: D20100AA 0473F31D
	v_mov_b32_e32 v30, v190                                    // 00000000A720: 7E3C03BE
	v_mov_b32_e32 v31, v191                                    // 00000000A724: 7E3E03BF
	v_cmp_u_f32_e64 s[74:75], v30, v30                         // 00000000A728: D048004A 00023D1E
	v_bfe_u32 v248, v30, 16, 1                                 // 00000000A730: D1C800F8 0205211E
	v_add3_u32 v248, v30, v248, v251                           // 00000000A738: D1FF00F8 07EFF11E
	v_cndmask_b32_e64 v28, v248, v250, s[74:75]                // 00000000A740: D100001C 012BF5F8
	v_lshrrev_b32_e32 v28, 16, v28                             // 00000000A748: 20383890
	v_cmp_u_f32_e64 s[74:75], v31, v31                         // 00000000A74C: D048004A 00023F1F
	v_bfe_u32 v248, v31, 16, 1                                 // 00000000A754: D1C800F8 0205211F
	v_add3_u32 v248, v31, v248, v251                           // 00000000A75C: D1FF00F8 07EFF11F
	v_cndmask_b32_e64 v29, v248, v250, s[74:75]                // 00000000A764: D100001D 012BF5F8
	v_and_or_b32 v171, v29, v249, v28                          // 00000000A76C: D20100AB 0473F31D
	v_mov_b32_e32 v30, v192                                    // 00000000A774: 7E3C03C0
	v_mov_b32_e32 v31, v193                                    // 00000000A778: 7E3E03C1
	v_cmp_u_f32_e64 s[74:75], v30, v30                         // 00000000A77C: D048004A 00023D1E
	v_bfe_u32 v248, v30, 16, 1                                 // 00000000A784: D1C800F8 0205211E
	v_add3_u32 v248, v30, v248, v251                           // 00000000A78C: D1FF00F8 07EFF11E
	v_cndmask_b32_e64 v28, v248, v250, s[74:75]                // 00000000A794: D100001C 012BF5F8
	v_lshrrev_b32_e32 v28, 16, v28                             // 00000000A79C: 20383890
	v_cmp_u_f32_e64 s[74:75], v31, v31                         // 00000000A7A0: D048004A 00023F1F
	v_bfe_u32 v248, v31, 16, 1                                 // 00000000A7A8: D1C800F8 0205211F
	v_add3_u32 v248, v31, v248, v251                           // 00000000A7B0: D1FF00F8 07EFF11F
	v_cndmask_b32_e64 v29, v248, v250, s[74:75]                // 00000000A7B8: D100001D 012BF5F8
	v_and_or_b32 v172, v29, v249, v28                          // 00000000A7C0: D20100AC 0473F31D
	v_mov_b32_e32 v30, v194                                    // 00000000A7C8: 7E3C03C2
	v_mov_b32_e32 v31, v195                                    // 00000000A7CC: 7E3E03C3
	v_cmp_u_f32_e64 s[74:75], v30, v30                         // 00000000A7D0: D048004A 00023D1E
	v_bfe_u32 v248, v30, 16, 1                                 // 00000000A7D8: D1C800F8 0205211E
	v_add3_u32 v248, v30, v248, v251                           // 00000000A7E0: D1FF00F8 07EFF11E
	v_cndmask_b32_e64 v28, v248, v250, s[74:75]                // 00000000A7E8: D100001C 012BF5F8
	v_lshrrev_b32_e32 v28, 16, v28                             // 00000000A7F0: 20383890
	v_cmp_u_f32_e64 s[74:75], v31, v31                         // 00000000A7F4: D048004A 00023F1F
	v_bfe_u32 v248, v31, 16, 1                                 // 00000000A7FC: D1C800F8 0205211F
	v_add3_u32 v248, v31, v248, v251                           // 00000000A804: D1FF00F8 07EFF11F
	v_cndmask_b32_e64 v29, v248, v250, s[74:75]                // 00000000A80C: D100001D 012BF5F8
	v_and_or_b32 v173, v29, v249, v28                          // 00000000A814: D20100AD 0473F31D
	v_mov_b32_e32 v30, v196                                    // 00000000A81C: 7E3C03C4
	v_mov_b32_e32 v31, v197                                    // 00000000A820: 7E3E03C5
	v_cmp_u_f32_e64 s[74:75], v30, v30                         // 00000000A824: D048004A 00023D1E
	v_bfe_u32 v248, v30, 16, 1                                 // 00000000A82C: D1C800F8 0205211E
	v_add3_u32 v248, v30, v248, v251                           // 00000000A834: D1FF00F8 07EFF11E
	v_cndmask_b32_e64 v28, v248, v250, s[74:75]                // 00000000A83C: D100001C 012BF5F8
	v_lshrrev_b32_e32 v28, 16, v28                             // 00000000A844: 20383890
	v_cmp_u_f32_e64 s[74:75], v31, v31                         // 00000000A848: D048004A 00023F1F
	v_bfe_u32 v248, v31, 16, 1                                 // 00000000A850: D1C800F8 0205211F
	v_add3_u32 v248, v31, v248, v251                           // 00000000A858: D1FF00F8 07EFF11F
	v_cndmask_b32_e64 v29, v248, v250, s[74:75]                // 00000000A860: D100001D 012BF5F8
	v_and_or_b32 v174, v29, v249, v28                          // 00000000A868: D20100AE 0473F31D
	v_mov_b32_e32 v30, v198                                    // 00000000A870: 7E3C03C6
	v_mov_b32_e32 v31, v199                                    // 00000000A874: 7E3E03C7
	v_cmp_u_f32_e64 s[74:75], v30, v30                         // 00000000A878: D048004A 00023D1E
	v_bfe_u32 v248, v30, 16, 1                                 // 00000000A880: D1C800F8 0205211E
	v_add3_u32 v248, v30, v248, v251                           // 00000000A888: D1FF00F8 07EFF11E
	v_cndmask_b32_e64 v28, v248, v250, s[74:75]                // 00000000A890: D100001C 012BF5F8
	v_lshrrev_b32_e32 v28, 16, v28                             // 00000000A898: 20383890
	v_cmp_u_f32_e64 s[74:75], v31, v31                         // 00000000A89C: D048004A 00023F1F
	v_bfe_u32 v248, v31, 16, 1                                 // 00000000A8A4: D1C800F8 0205211F
	v_add3_u32 v248, v31, v248, v251                           // 00000000A8AC: D1FF00F8 07EFF11F
	v_cndmask_b32_e64 v29, v248, v250, s[74:75]                // 00000000A8B4: D100001D 012BF5F8
	v_and_or_b32 v175, v29, v249, v28                          // 00000000A8BC: D20100AF 0473F31D
	v_mov_b32_e32 v30, v200                                    // 00000000A8C4: 7E3C03C8
	v_mov_b32_e32 v31, v201                                    // 00000000A8C8: 7E3E03C9
	v_cmp_u_f32_e64 s[74:75], v30, v30                         // 00000000A8CC: D048004A 00023D1E
	v_bfe_u32 v248, v30, 16, 1                                 // 00000000A8D4: D1C800F8 0205211E
	v_add3_u32 v248, v30, v248, v251                           // 00000000A8DC: D1FF00F8 07EFF11E
	v_cndmask_b32_e64 v28, v248, v250, s[74:75]                // 00000000A8E4: D100001C 012BF5F8
	v_lshrrev_b32_e32 v28, 16, v28                             // 00000000A8EC: 20383890
	v_cmp_u_f32_e64 s[74:75], v31, v31                         // 00000000A8F0: D048004A 00023F1F
	v_bfe_u32 v248, v31, 16, 1                                 // 00000000A8F8: D1C800F8 0205211F
	v_add3_u32 v248, v31, v248, v251                           // 00000000A900: D1FF00F8 07EFF11F
	v_cndmask_b32_e64 v29, v248, v250, s[74:75]                // 00000000A908: D100001D 012BF5F8
	v_and_or_b32 v176, v29, v249, v28                          // 00000000A910: D20100B0 0473F31D
	v_mov_b32_e32 v30, v202                                    // 00000000A918: 7E3C03CA
	v_mov_b32_e32 v31, v203                                    // 00000000A91C: 7E3E03CB
	v_cmp_u_f32_e64 s[74:75], v30, v30                         // 00000000A920: D048004A 00023D1E
	v_bfe_u32 v248, v30, 16, 1                                 // 00000000A928: D1C800F8 0205211E
	v_add3_u32 v248, v30, v248, v251                           // 00000000A930: D1FF00F8 07EFF11E
	v_cndmask_b32_e64 v28, v248, v250, s[74:75]                // 00000000A938: D100001C 012BF5F8
	v_lshrrev_b32_e32 v28, 16, v28                             // 00000000A940: 20383890
	v_cmp_u_f32_e64 s[74:75], v31, v31                         // 00000000A944: D048004A 00023F1F
	v_bfe_u32 v248, v31, 16, 1                                 // 00000000A94C: D1C800F8 0205211F
	v_add3_u32 v248, v31, v248, v251                           // 00000000A954: D1FF00F8 07EFF11F
	v_cndmask_b32_e64 v29, v248, v250, s[74:75]                // 00000000A95C: D100001D 012BF5F8
	v_and_or_b32 v177, v29, v249, v28                          // 00000000A964: D20100B1 0473F31D
	v_mov_b32_e32 v30, v204                                    // 00000000A96C: 7E3C03CC
	v_mov_b32_e32 v31, v205                                    // 00000000A970: 7E3E03CD
	v_cmp_u_f32_e64 s[74:75], v30, v30                         // 00000000A974: D048004A 00023D1E
	v_bfe_u32 v248, v30, 16, 1                                 // 00000000A97C: D1C800F8 0205211E
	v_add3_u32 v248, v30, v248, v251                           // 00000000A984: D1FF00F8 07EFF11E
	v_cndmask_b32_e64 v28, v248, v250, s[74:75]                // 00000000A98C: D100001C 012BF5F8
	v_lshrrev_b32_e32 v28, 16, v28                             // 00000000A994: 20383890
	v_cmp_u_f32_e64 s[74:75], v31, v31                         // 00000000A998: D048004A 00023F1F
	v_bfe_u32 v248, v31, 16, 1                                 // 00000000A9A0: D1C800F8 0205211F
	v_add3_u32 v248, v31, v248, v251                           // 00000000A9A8: D1FF00F8 07EFF11F
	v_cndmask_b32_e64 v29, v248, v250, s[74:75]                // 00000000A9B0: D100001D 012BF5F8
	v_and_or_b32 v178, v29, v249, v28                          // 00000000A9B8: D20100B2 0473F31D
	v_mov_b32_e32 v30, v206                                    // 00000000A9C0: 7E3C03CE
	v_mov_b32_e32 v31, v207                                    // 00000000A9C4: 7E3E03CF
	v_cmp_u_f32_e64 s[74:75], v30, v30                         // 00000000A9C8: D048004A 00023D1E
	v_bfe_u32 v248, v30, 16, 1                                 // 00000000A9D0: D1C800F8 0205211E
	v_add3_u32 v248, v30, v248, v251                           // 00000000A9D8: D1FF00F8 07EFF11E
	v_cndmask_b32_e64 v28, v248, v250, s[74:75]                // 00000000A9E0: D100001C 012BF5F8
	v_lshrrev_b32_e32 v28, 16, v28                             // 00000000A9E8: 20383890
	v_cmp_u_f32_e64 s[74:75], v31, v31                         // 00000000A9EC: D048004A 00023F1F
	v_bfe_u32 v248, v31, 16, 1                                 // 00000000A9F4: D1C800F8 0205211F
	v_add3_u32 v248, v31, v248, v251                           // 00000000A9FC: D1FF00F8 07EFF11F
	v_cndmask_b32_e64 v29, v248, v250, s[74:75]                // 00000000AA04: D100001D 012BF5F8
	v_and_or_b32 v179, v29, v249, v28                          // 00000000AA0C: D20100B3 0473F31D
	v_mov_b32_e32 v30, v208                                    // 00000000AA14: 7E3C03D0
	v_mov_b32_e32 v31, v209                                    // 00000000AA18: 7E3E03D1
	v_cmp_u_f32_e64 s[74:75], v30, v30                         // 00000000AA1C: D048004A 00023D1E
	v_bfe_u32 v248, v30, 16, 1                                 // 00000000AA24: D1C800F8 0205211E
	v_add3_u32 v248, v30, v248, v251                           // 00000000AA2C: D1FF00F8 07EFF11E
	v_cndmask_b32_e64 v28, v248, v250, s[74:75]                // 00000000AA34: D100001C 012BF5F8
	v_lshrrev_b32_e32 v28, 16, v28                             // 00000000AA3C: 20383890
	v_cmp_u_f32_e64 s[74:75], v31, v31                         // 00000000AA40: D048004A 00023F1F
	v_bfe_u32 v248, v31, 16, 1                                 // 00000000AA48: D1C800F8 0205211F
	v_add3_u32 v248, v31, v248, v251                           // 00000000AA50: D1FF00F8 07EFF11F
	v_cndmask_b32_e64 v29, v248, v250, s[74:75]                // 00000000AA58: D100001D 012BF5F8
	v_and_or_b32 v180, v29, v249, v28                          // 00000000AA60: D20100B4 0473F31D
	v_mov_b32_e32 v30, v210                                    // 00000000AA68: 7E3C03D2
	v_mov_b32_e32 v31, v211                                    // 00000000AA6C: 7E3E03D3
	v_cmp_u_f32_e64 s[74:75], v30, v30                         // 00000000AA70: D048004A 00023D1E
	v_bfe_u32 v248, v30, 16, 1                                 // 00000000AA78: D1C800F8 0205211E
	v_add3_u32 v248, v30, v248, v251                           // 00000000AA80: D1FF00F8 07EFF11E
	v_cndmask_b32_e64 v28, v248, v250, s[74:75]                // 00000000AA88: D100001C 012BF5F8
	v_lshrrev_b32_e32 v28, 16, v28                             // 00000000AA90: 20383890
	v_cmp_u_f32_e64 s[74:75], v31, v31                         // 00000000AA94: D048004A 00023F1F
	v_bfe_u32 v248, v31, 16, 1                                 // 00000000AA9C: D1C800F8 0205211F
	v_add3_u32 v248, v31, v248, v251                           // 00000000AAA4: D1FF00F8 07EFF11F
	v_cndmask_b32_e64 v29, v248, v250, s[74:75]                // 00000000AAAC: D100001D 012BF5F8
	v_and_or_b32 v181, v29, v249, v28                          // 00000000AAB4: D20100B5 0473F31D
	v_mov_b32_e32 v30, v212                                    // 00000000AABC: 7E3C03D4
	v_mov_b32_e32 v31, v213                                    // 00000000AAC0: 7E3E03D5
	v_cmp_u_f32_e64 s[74:75], v30, v30                         // 00000000AAC4: D048004A 00023D1E
	v_bfe_u32 v248, v30, 16, 1                                 // 00000000AACC: D1C800F8 0205211E
	v_add3_u32 v248, v30, v248, v251                           // 00000000AAD4: D1FF00F8 07EFF11E
	v_cndmask_b32_e64 v28, v248, v250, s[74:75]                // 00000000AADC: D100001C 012BF5F8
	v_lshrrev_b32_e32 v28, 16, v28                             // 00000000AAE4: 20383890
	v_cmp_u_f32_e64 s[74:75], v31, v31                         // 00000000AAE8: D048004A 00023F1F
	v_bfe_u32 v248, v31, 16, 1                                 // 00000000AAF0: D1C800F8 0205211F
	v_add3_u32 v248, v31, v248, v251                           // 00000000AAF8: D1FF00F8 07EFF11F
	v_cndmask_b32_e64 v29, v248, v250, s[74:75]                // 00000000AB00: D100001D 012BF5F8
	v_and_or_b32 v182, v29, v249, v28                          // 00000000AB08: D20100B6 0473F31D
	v_mov_b32_e32 v30, v214                                    // 00000000AB10: 7E3C03D6
	v_mov_b32_e32 v31, v215                                    // 00000000AB14: 7E3E03D7
	v_cmp_u_f32_e64 s[74:75], v30, v30                         // 00000000AB18: D048004A 00023D1E
	v_bfe_u32 v248, v30, 16, 1                                 // 00000000AB20: D1C800F8 0205211E
	v_add3_u32 v248, v30, v248, v251                           // 00000000AB28: D1FF00F8 07EFF11E
	v_cndmask_b32_e64 v28, v248, v250, s[74:75]                // 00000000AB30: D100001C 012BF5F8
	v_lshrrev_b32_e32 v28, 16, v28                             // 00000000AB38: 20383890
	v_cmp_u_f32_e64 s[74:75], v31, v31                         // 00000000AB3C: D048004A 00023F1F
	v_bfe_u32 v248, v31, 16, 1                                 // 00000000AB44: D1C800F8 0205211F
	v_add3_u32 v248, v31, v248, v251                           // 00000000AB4C: D1FF00F8 07EFF11F
	v_cndmask_b32_e64 v29, v248, v250, s[74:75]                // 00000000AB54: D100001D 012BF5F8
	v_and_or_b32 v183, v29, v249, v28                          // 00000000AB5C: D20100B7 0473F31D
	ds_write_b64 v25, v[168:169] offset:16896                  // 00000000AB64: D89A4200 0000A819
	ds_write_b64 v25, v[170:171] offset:17424                  // 00000000AB6C: D89A4410 0000AA19
	ds_write_b64 v25, v[172:173] offset:17952                  // 00000000AB74: D89A4620 0000AC19
	ds_write_b64 v25, v[174:175] offset:18480                  // 00000000AB7C: D89A4830 0000AE19
	ds_write_b64 v25, v[176:177] offset:19008                  // 00000000AB84: D89A4A40 0000B019
	ds_write_b64 v25, v[178:179] offset:19536                  // 00000000AB8C: D89A4C50 0000B219
	ds_write_b64 v25, v[180:181] offset:20064                  // 00000000AB94: D89A4E60 0000B419
	ds_write_b64 v25, v[182:183] offset:20592                  // 00000000AB9C: D89A5070 0000B619
	s_waitcnt lgkmcnt(0)                                       // 00000000ABA4: BF8CC07F
	s_barrier                                                  // 00000000ABA8: BF8A0000
	ds_read_b64 v[168:169], v24 offset:16896                   // 00000000ABAC: D8EC4200 A8000018
	ds_read_b64 v[170:171], v24 offset:17024                   // 00000000ABB4: D8EC4280 AA000018
	ds_read_b64 v[172:173], v24 offset:16928                   // 00000000ABBC: D8EC4220 AC000018
	ds_read_b64 v[174:175], v24 offset:17056                   // 00000000ABC4: D8EC42A0 AE000018
	ds_read_b64 v[176:177], v24 offset:16960                   // 00000000ABCC: D8EC4240 B0000018
	ds_read_b64 v[178:179], v24 offset:17088                   // 00000000ABD4: D8EC42C0 B2000018
	ds_read_b64 v[180:181], v24 offset:16992                   // 00000000ABDC: D8EC4260 B4000018
	ds_read_b64 v[182:183], v24 offset:17120                   // 00000000ABE4: D8EC42E0 B6000018
	s_waitcnt lgkmcnt(0)                                       // 00000000ABEC: BF8CC07F
	buffer_store_dwordx4 v[168:171], v6, s[40:43], 0 idxen     // 00000000ABF0: E07C2000 800AA806
	v_add_u32_e32 v6, s46, v6                                  // 00000000ABF8: 680C0C2E
	buffer_store_dwordx4 v[172:175], v6, s[40:43], 0 idxen     // 00000000ABFC: E07C2000 800AAC06
	v_add_u32_e32 v6, s46, v6                                  // 00000000AC04: 680C0C2E
	buffer_store_dwordx4 v[176:179], v6, s[40:43], 0 idxen     // 00000000AC08: E07C2000 800AB006
	v_add_u32_e32 v6, s46, v6                                  // 00000000AC10: 680C0C2E
	buffer_store_dwordx4 v[180:183], v6, s[40:43], 0 idxen     // 00000000AC14: E07C2000 800AB406
	v_add_u32_e32 v6, s46, v6                                  // 00000000AC1C: 680C0C2E
	s_mul_i32 s60, 12, s46                                     // 00000000AC20: 923C2E8C
	v_add_u32_e32 v6, s60, v6                                  // 00000000AC24: 680C0C3C
	s_cmp_ge_i32 2, s73                                        // 00000000AC28: BF034982
	s_cbranch_scc1 label_1D0F                                  // 00000000AC2C: BF850183
	v_mov_b32_e32 v30, v216                                    // 00000000AC30: 7E3C03D8
	v_mov_b32_e32 v31, v217                                    // 00000000AC34: 7E3E03D9
	v_cmp_u_f32_e64 s[74:75], v30, v30                         // 00000000AC38: D048004A 00023D1E
	v_bfe_u32 v248, v30, 16, 1                                 // 00000000AC40: D1C800F8 0205211E
	v_add3_u32 v248, v30, v248, v251                           // 00000000AC48: D1FF00F8 07EFF11E
	v_cndmask_b32_e64 v28, v248, v250, s[74:75]                // 00000000AC50: D100001C 012BF5F8
	v_lshrrev_b32_e32 v28, 16, v28                             // 00000000AC58: 20383890
	v_cmp_u_f32_e64 s[74:75], v31, v31                         // 00000000AC5C: D048004A 00023F1F
	v_bfe_u32 v248, v31, 16, 1                                 // 00000000AC64: D1C800F8 0205211F
	v_add3_u32 v248, v31, v248, v251                           // 00000000AC6C: D1FF00F8 07EFF11F
	v_cndmask_b32_e64 v29, v248, v250, s[74:75]                // 00000000AC74: D100001D 012BF5F8
	v_and_or_b32 v184, v29, v249, v28                          // 00000000AC7C: D20100B8 0473F31D
	v_mov_b32_e32 v30, v218                                    // 00000000AC84: 7E3C03DA
	v_mov_b32_e32 v31, v219                                    // 00000000AC88: 7E3E03DB
	v_cmp_u_f32_e64 s[74:75], v30, v30                         // 00000000AC8C: D048004A 00023D1E
	v_bfe_u32 v248, v30, 16, 1                                 // 00000000AC94: D1C800F8 0205211E
	v_add3_u32 v248, v30, v248, v251                           // 00000000AC9C: D1FF00F8 07EFF11E
	v_cndmask_b32_e64 v28, v248, v250, s[74:75]                // 00000000ACA4: D100001C 012BF5F8
	v_lshrrev_b32_e32 v28, 16, v28                             // 00000000ACAC: 20383890
	v_cmp_u_f32_e64 s[74:75], v31, v31                         // 00000000ACB0: D048004A 00023F1F
	v_bfe_u32 v248, v31, 16, 1                                 // 00000000ACB8: D1C800F8 0205211F
	v_add3_u32 v248, v31, v248, v251                           // 00000000ACC0: D1FF00F8 07EFF11F
	v_cndmask_b32_e64 v29, v248, v250, s[74:75]                // 00000000ACC8: D100001D 012BF5F8
	v_and_or_b32 v185, v29, v249, v28                          // 00000000ACD0: D20100B9 0473F31D
	v_mov_b32_e32 v30, v220                                    // 00000000ACD8: 7E3C03DC
	v_mov_b32_e32 v31, v221                                    // 00000000ACDC: 7E3E03DD
	v_cmp_u_f32_e64 s[74:75], v30, v30                         // 00000000ACE0: D048004A 00023D1E
	v_bfe_u32 v248, v30, 16, 1                                 // 00000000ACE8: D1C800F8 0205211E
	v_add3_u32 v248, v30, v248, v251                           // 00000000ACF0: D1FF00F8 07EFF11E
	v_cndmask_b32_e64 v28, v248, v250, s[74:75]                // 00000000ACF8: D100001C 012BF5F8
	v_lshrrev_b32_e32 v28, 16, v28                             // 00000000AD00: 20383890
	v_cmp_u_f32_e64 s[74:75], v31, v31                         // 00000000AD04: D048004A 00023F1F
	v_bfe_u32 v248, v31, 16, 1                                 // 00000000AD0C: D1C800F8 0205211F
	v_add3_u32 v248, v31, v248, v251                           // 00000000AD14: D1FF00F8 07EFF11F
	v_cndmask_b32_e64 v29, v248, v250, s[74:75]                // 00000000AD1C: D100001D 012BF5F8
	v_and_or_b32 v186, v29, v249, v28                          // 00000000AD24: D20100BA 0473F31D
	v_mov_b32_e32 v30, v222                                    // 00000000AD2C: 7E3C03DE
	v_mov_b32_e32 v31, v223                                    // 00000000AD30: 7E3E03DF
	v_cmp_u_f32_e64 s[74:75], v30, v30                         // 00000000AD34: D048004A 00023D1E
	v_bfe_u32 v248, v30, 16, 1                                 // 00000000AD3C: D1C800F8 0205211E
	v_add3_u32 v248, v30, v248, v251                           // 00000000AD44: D1FF00F8 07EFF11E
	v_cndmask_b32_e64 v28, v248, v250, s[74:75]                // 00000000AD4C: D100001C 012BF5F8
	v_lshrrev_b32_e32 v28, 16, v28                             // 00000000AD54: 20383890
	v_cmp_u_f32_e64 s[74:75], v31, v31                         // 00000000AD58: D048004A 00023F1F
	v_bfe_u32 v248, v31, 16, 1                                 // 00000000AD60: D1C800F8 0205211F
	v_add3_u32 v248, v31, v248, v251                           // 00000000AD68: D1FF00F8 07EFF11F
	v_cndmask_b32_e64 v29, v248, v250, s[74:75]                // 00000000AD70: D100001D 012BF5F8
	v_and_or_b32 v187, v29, v249, v28                          // 00000000AD78: D20100BB 0473F31D
	v_mov_b32_e32 v30, v224                                    // 00000000AD80: 7E3C03E0
	v_mov_b32_e32 v31, v225                                    // 00000000AD84: 7E3E03E1
	v_cmp_u_f32_e64 s[74:75], v30, v30                         // 00000000AD88: D048004A 00023D1E
	v_bfe_u32 v248, v30, 16, 1                                 // 00000000AD90: D1C800F8 0205211E
	v_add3_u32 v248, v30, v248, v251                           // 00000000AD98: D1FF00F8 07EFF11E
	v_cndmask_b32_e64 v28, v248, v250, s[74:75]                // 00000000ADA0: D100001C 012BF5F8
	v_lshrrev_b32_e32 v28, 16, v28                             // 00000000ADA8: 20383890
	v_cmp_u_f32_e64 s[74:75], v31, v31                         // 00000000ADAC: D048004A 00023F1F
	v_bfe_u32 v248, v31, 16, 1                                 // 00000000ADB4: D1C800F8 0205211F
	v_add3_u32 v248, v31, v248, v251                           // 00000000ADBC: D1FF00F8 07EFF11F
	v_cndmask_b32_e64 v29, v248, v250, s[74:75]                // 00000000ADC4: D100001D 012BF5F8
	v_and_or_b32 v188, v29, v249, v28                          // 00000000ADCC: D20100BC 0473F31D
	v_mov_b32_e32 v30, v226                                    // 00000000ADD4: 7E3C03E2
	v_mov_b32_e32 v31, v227                                    // 00000000ADD8: 7E3E03E3
	v_cmp_u_f32_e64 s[74:75], v30, v30                         // 00000000ADDC: D048004A 00023D1E
	v_bfe_u32 v248, v30, 16, 1                                 // 00000000ADE4: D1C800F8 0205211E
	v_add3_u32 v248, v30, v248, v251                           // 00000000ADEC: D1FF00F8 07EFF11E
	v_cndmask_b32_e64 v28, v248, v250, s[74:75]                // 00000000ADF4: D100001C 012BF5F8
	v_lshrrev_b32_e32 v28, 16, v28                             // 00000000ADFC: 20383890
	v_cmp_u_f32_e64 s[74:75], v31, v31                         // 00000000AE00: D048004A 00023F1F
	v_bfe_u32 v248, v31, 16, 1                                 // 00000000AE08: D1C800F8 0205211F
	v_add3_u32 v248, v31, v248, v251                           // 00000000AE10: D1FF00F8 07EFF11F
	v_cndmask_b32_e64 v29, v248, v250, s[74:75]                // 00000000AE18: D100001D 012BF5F8
	v_and_or_b32 v189, v29, v249, v28                          // 00000000AE20: D20100BD 0473F31D
	v_mov_b32_e32 v30, v228                                    // 00000000AE28: 7E3C03E4
	v_mov_b32_e32 v31, v229                                    // 00000000AE2C: 7E3E03E5
	v_cmp_u_f32_e64 s[74:75], v30, v30                         // 00000000AE30: D048004A 00023D1E
	v_bfe_u32 v248, v30, 16, 1                                 // 00000000AE38: D1C800F8 0205211E
	v_add3_u32 v248, v30, v248, v251                           // 00000000AE40: D1FF00F8 07EFF11E
	v_cndmask_b32_e64 v28, v248, v250, s[74:75]                // 00000000AE48: D100001C 012BF5F8
	v_lshrrev_b32_e32 v28, 16, v28                             // 00000000AE50: 20383890
	v_cmp_u_f32_e64 s[74:75], v31, v31                         // 00000000AE54: D048004A 00023F1F
	v_bfe_u32 v248, v31, 16, 1                                 // 00000000AE5C: D1C800F8 0205211F
	v_add3_u32 v248, v31, v248, v251                           // 00000000AE64: D1FF00F8 07EFF11F
	v_cndmask_b32_e64 v29, v248, v250, s[74:75]                // 00000000AE6C: D100001D 012BF5F8
	v_and_or_b32 v190, v29, v249, v28                          // 00000000AE74: D20100BE 0473F31D
	v_mov_b32_e32 v30, v230                                    // 00000000AE7C: 7E3C03E6
	v_mov_b32_e32 v31, v231                                    // 00000000AE80: 7E3E03E7
	v_cmp_u_f32_e64 s[74:75], v30, v30                         // 00000000AE84: D048004A 00023D1E
	v_bfe_u32 v248, v30, 16, 1                                 // 00000000AE8C: D1C800F8 0205211E
	v_add3_u32 v248, v30, v248, v251                           // 00000000AE94: D1FF00F8 07EFF11E
	v_cndmask_b32_e64 v28, v248, v250, s[74:75]                // 00000000AE9C: D100001C 012BF5F8
	v_lshrrev_b32_e32 v28, 16, v28                             // 00000000AEA4: 20383890
	v_cmp_u_f32_e64 s[74:75], v31, v31                         // 00000000AEA8: D048004A 00023F1F
	v_bfe_u32 v248, v31, 16, 1                                 // 00000000AEB0: D1C800F8 0205211F
	v_add3_u32 v248, v31, v248, v251                           // 00000000AEB8: D1FF00F8 07EFF11F
	v_cndmask_b32_e64 v29, v248, v250, s[74:75]                // 00000000AEC0: D100001D 012BF5F8
	v_and_or_b32 v191, v29, v249, v28                          // 00000000AEC8: D20100BF 0473F31D
	v_mov_b32_e32 v30, v232                                    // 00000000AED0: 7E3C03E8
	v_mov_b32_e32 v31, v233                                    // 00000000AED4: 7E3E03E9
	v_cmp_u_f32_e64 s[74:75], v30, v30                         // 00000000AED8: D048004A 00023D1E
	v_bfe_u32 v248, v30, 16, 1                                 // 00000000AEE0: D1C800F8 0205211E
	v_add3_u32 v248, v30, v248, v251                           // 00000000AEE8: D1FF00F8 07EFF11E
	v_cndmask_b32_e64 v28, v248, v250, s[74:75]                // 00000000AEF0: D100001C 012BF5F8
	v_lshrrev_b32_e32 v28, 16, v28                             // 00000000AEF8: 20383890
	v_cmp_u_f32_e64 s[74:75], v31, v31                         // 00000000AEFC: D048004A 00023F1F
	v_bfe_u32 v248, v31, 16, 1                                 // 00000000AF04: D1C800F8 0205211F
	v_add3_u32 v248, v31, v248, v251                           // 00000000AF0C: D1FF00F8 07EFF11F
	v_cndmask_b32_e64 v29, v248, v250, s[74:75]                // 00000000AF14: D100001D 012BF5F8
	v_and_or_b32 v192, v29, v249, v28                          // 00000000AF1C: D20100C0 0473F31D
	v_mov_b32_e32 v30, v234                                    // 00000000AF24: 7E3C03EA
	v_mov_b32_e32 v31, v235                                    // 00000000AF28: 7E3E03EB
	v_cmp_u_f32_e64 s[74:75], v30, v30                         // 00000000AF2C: D048004A 00023D1E
	v_bfe_u32 v248, v30, 16, 1                                 // 00000000AF34: D1C800F8 0205211E
	v_add3_u32 v248, v30, v248, v251                           // 00000000AF3C: D1FF00F8 07EFF11E
	v_cndmask_b32_e64 v28, v248, v250, s[74:75]                // 00000000AF44: D100001C 012BF5F8
	v_lshrrev_b32_e32 v28, 16, v28                             // 00000000AF4C: 20383890
	v_cmp_u_f32_e64 s[74:75], v31, v31                         // 00000000AF50: D048004A 00023F1F
	v_bfe_u32 v248, v31, 16, 1                                 // 00000000AF58: D1C800F8 0205211F
	v_add3_u32 v248, v31, v248, v251                           // 00000000AF60: D1FF00F8 07EFF11F
	v_cndmask_b32_e64 v29, v248, v250, s[74:75]                // 00000000AF68: D100001D 012BF5F8
	v_and_or_b32 v193, v29, v249, v28                          // 00000000AF70: D20100C1 0473F31D
	v_mov_b32_e32 v30, v236                                    // 00000000AF78: 7E3C03EC
	v_mov_b32_e32 v31, v237                                    // 00000000AF7C: 7E3E03ED
	v_cmp_u_f32_e64 s[74:75], v30, v30                         // 00000000AF80: D048004A 00023D1E
	v_bfe_u32 v248, v30, 16, 1                                 // 00000000AF88: D1C800F8 0205211E
	v_add3_u32 v248, v30, v248, v251                           // 00000000AF90: D1FF00F8 07EFF11E
	v_cndmask_b32_e64 v28, v248, v250, s[74:75]                // 00000000AF98: D100001C 012BF5F8
	v_lshrrev_b32_e32 v28, 16, v28                             // 00000000AFA0: 20383890
	v_cmp_u_f32_e64 s[74:75], v31, v31                         // 00000000AFA4: D048004A 00023F1F
	v_bfe_u32 v248, v31, 16, 1                                 // 00000000AFAC: D1C800F8 0205211F
	v_add3_u32 v248, v31, v248, v251                           // 00000000AFB4: D1FF00F8 07EFF11F
	v_cndmask_b32_e64 v29, v248, v250, s[74:75]                // 00000000AFBC: D100001D 012BF5F8
	v_and_or_b32 v194, v29, v249, v28                          // 00000000AFC4: D20100C2 0473F31D
	v_mov_b32_e32 v30, v238                                    // 00000000AFCC: 7E3C03EE
	v_mov_b32_e32 v31, v239                                    // 00000000AFD0: 7E3E03EF
	v_cmp_u_f32_e64 s[74:75], v30, v30                         // 00000000AFD4: D048004A 00023D1E
	v_bfe_u32 v248, v30, 16, 1                                 // 00000000AFDC: D1C800F8 0205211E
	v_add3_u32 v248, v30, v248, v251                           // 00000000AFE4: D1FF00F8 07EFF11E
	v_cndmask_b32_e64 v28, v248, v250, s[74:75]                // 00000000AFEC: D100001C 012BF5F8
	v_lshrrev_b32_e32 v28, 16, v28                             // 00000000AFF4: 20383890
	v_cmp_u_f32_e64 s[74:75], v31, v31                         // 00000000AFF8: D048004A 00023F1F
	v_bfe_u32 v248, v31, 16, 1                                 // 00000000B000: D1C800F8 0205211F
	v_add3_u32 v248, v31, v248, v251                           // 00000000B008: D1FF00F8 07EFF11F
	v_cndmask_b32_e64 v29, v248, v250, s[74:75]                // 00000000B010: D100001D 012BF5F8
	v_and_or_b32 v195, v29, v249, v28                          // 00000000B018: D20100C3 0473F31D
	v_mov_b32_e32 v30, v240                                    // 00000000B020: 7E3C03F0
	v_mov_b32_e32 v31, v241                                    // 00000000B024: 7E3E03F1
	v_cmp_u_f32_e64 s[74:75], v30, v30                         // 00000000B028: D048004A 00023D1E
	v_bfe_u32 v248, v30, 16, 1                                 // 00000000B030: D1C800F8 0205211E
	v_add3_u32 v248, v30, v248, v251                           // 00000000B038: D1FF00F8 07EFF11E
	v_cndmask_b32_e64 v28, v248, v250, s[74:75]                // 00000000B040: D100001C 012BF5F8
	v_lshrrev_b32_e32 v28, 16, v28                             // 00000000B048: 20383890
	v_cmp_u_f32_e64 s[74:75], v31, v31                         // 00000000B04C: D048004A 00023F1F
	v_bfe_u32 v248, v31, 16, 1                                 // 00000000B054: D1C800F8 0205211F
	v_add3_u32 v248, v31, v248, v251                           // 00000000B05C: D1FF00F8 07EFF11F
	v_cndmask_b32_e64 v29, v248, v250, s[74:75]                // 00000000B064: D100001D 012BF5F8
	v_and_or_b32 v196, v29, v249, v28                          // 00000000B06C: D20100C4 0473F31D
	v_mov_b32_e32 v30, v242                                    // 00000000B074: 7E3C03F2
	v_mov_b32_e32 v31, v243                                    // 00000000B078: 7E3E03F3
	v_cmp_u_f32_e64 s[74:75], v30, v30                         // 00000000B07C: D048004A 00023D1E
	v_bfe_u32 v248, v30, 16, 1                                 // 00000000B084: D1C800F8 0205211E
	v_add3_u32 v248, v30, v248, v251                           // 00000000B08C: D1FF00F8 07EFF11E
	v_cndmask_b32_e64 v28, v248, v250, s[74:75]                // 00000000B094: D100001C 012BF5F8
	v_lshrrev_b32_e32 v28, 16, v28                             // 00000000B09C: 20383890
	v_cmp_u_f32_e64 s[74:75], v31, v31                         // 00000000B0A0: D048004A 00023F1F
	v_bfe_u32 v248, v31, 16, 1                                 // 00000000B0A8: D1C800F8 0205211F
	v_add3_u32 v248, v31, v248, v251                           // 00000000B0B0: D1FF00F8 07EFF11F
	v_cndmask_b32_e64 v29, v248, v250, s[74:75]                // 00000000B0B8: D100001D 012BF5F8
	v_and_or_b32 v197, v29, v249, v28                          // 00000000B0C0: D20100C5 0473F31D
	v_mov_b32_e32 v30, v244                                    // 00000000B0C8: 7E3C03F4
	v_mov_b32_e32 v31, v245                                    // 00000000B0CC: 7E3E03F5
	v_cmp_u_f32_e64 s[74:75], v30, v30                         // 00000000B0D0: D048004A 00023D1E
	v_bfe_u32 v248, v30, 16, 1                                 // 00000000B0D8: D1C800F8 0205211E
	v_add3_u32 v248, v30, v248, v251                           // 00000000B0E0: D1FF00F8 07EFF11E
	v_cndmask_b32_e64 v28, v248, v250, s[74:75]                // 00000000B0E8: D100001C 012BF5F8
	v_lshrrev_b32_e32 v28, 16, v28                             // 00000000B0F0: 20383890
	v_cmp_u_f32_e64 s[74:75], v31, v31                         // 00000000B0F4: D048004A 00023F1F
	v_bfe_u32 v248, v31, 16, 1                                 // 00000000B0FC: D1C800F8 0205211F
	v_add3_u32 v248, v31, v248, v251                           // 00000000B104: D1FF00F8 07EFF11F
	v_cndmask_b32_e64 v29, v248, v250, s[74:75]                // 00000000B10C: D100001D 012BF5F8
	v_and_or_b32 v198, v29, v249, v28                          // 00000000B114: D20100C6 0473F31D
	v_mov_b32_e32 v30, v246                                    // 00000000B11C: 7E3C03F6
	v_mov_b32_e32 v31, v247                                    // 00000000B120: 7E3E03F7
	v_cmp_u_f32_e64 s[74:75], v30, v30                         // 00000000B124: D048004A 00023D1E
	v_bfe_u32 v248, v30, 16, 1                                 // 00000000B12C: D1C800F8 0205211E
	v_add3_u32 v248, v30, v248, v251                           // 00000000B134: D1FF00F8 07EFF11E
	v_cndmask_b32_e64 v28, v248, v250, s[74:75]                // 00000000B13C: D100001C 012BF5F8
	v_lshrrev_b32_e32 v28, 16, v28                             // 00000000B144: 20383890
	v_cmp_u_f32_e64 s[74:75], v31, v31                         // 00000000B148: D048004A 00023F1F
	v_bfe_u32 v248, v31, 16, 1                                 // 00000000B150: D1C800F8 0205211F
	v_add3_u32 v248, v31, v248, v251                           // 00000000B158: D1FF00F8 07EFF11F
	v_cndmask_b32_e64 v29, v248, v250, s[74:75]                // 00000000B160: D100001D 012BF5F8
	v_and_or_b32 v199, v29, v249, v28                          // 00000000B168: D20100C7 0473F31D
	ds_write_b64 v25, v[184:185] offset:33792                  // 00000000B170: D89A8400 0000B819
	ds_write_b64 v25, v[186:187] offset:34320                  // 00000000B178: D89A8610 0000BA19
	ds_write_b64 v25, v[188:189] offset:34848                  // 00000000B180: D89A8820 0000BC19
	ds_write_b64 v25, v[190:191] offset:35376                  // 00000000B188: D89A8A30 0000BE19
	ds_write_b64 v25, v[192:193] offset:35904                  // 00000000B190: D89A8C40 0000C019
	ds_write_b64 v25, v[194:195] offset:36432                  // 00000000B198: D89A8E50 0000C219
	ds_write_b64 v25, v[196:197] offset:36960                  // 00000000B1A0: D89A9060 0000C419
	ds_write_b64 v25, v[198:199] offset:37488                  // 00000000B1A8: D89A9270 0000C619
	s_waitcnt lgkmcnt(0)                                       // 00000000B1B0: BF8CC07F
	s_barrier                                                  // 00000000B1B4: BF8A0000
	ds_read_b64 v[184:185], v24 offset:33792                   // 00000000B1B8: D8EC8400 B8000018
	ds_read_b64 v[186:187], v24 offset:33920                   // 00000000B1C0: D8EC8480 BA000018
	ds_read_b64 v[188:189], v24 offset:33824                   // 00000000B1C8: D8EC8420 BC000018
	ds_read_b64 v[190:191], v24 offset:33952                   // 00000000B1D0: D8EC84A0 BE000018
	ds_read_b64 v[192:193], v24 offset:33856                   // 00000000B1D8: D8EC8440 C0000018
	ds_read_b64 v[194:195], v24 offset:33984                   // 00000000B1E0: D8EC84C0 C2000018
	ds_read_b64 v[196:197], v24 offset:33888                   // 00000000B1E8: D8EC8460 C4000018
	ds_read_b64 v[198:199], v24 offset:34016                   // 00000000B1F0: D8EC84E0 C6000018
	s_waitcnt lgkmcnt(0)                                       // 00000000B1F8: BF8CC07F
	buffer_store_dwordx4 v[184:187], v6, s[40:43], 0 idxen     // 00000000B1FC: E07C2000 800AB806
	v_add_u32_e32 v6, s46, v6                                  // 00000000B204: 680C0C2E
	buffer_store_dwordx4 v[188:191], v6, s[40:43], 0 idxen     // 00000000B208: E07C2000 800ABC06
	v_add_u32_e32 v6, s46, v6                                  // 00000000B210: 680C0C2E
	buffer_store_dwordx4 v[192:195], v6, s[40:43], 0 idxen     // 00000000B214: E07C2000 800AC006
	v_add_u32_e32 v6, s46, v6                                  // 00000000B21C: 680C0C2E
	buffer_store_dwordx4 v[196:199], v6, s[40:43], 0 idxen     // 00000000B220: E07C2000 800AC406
	v_add_u32_e32 v6, s46, v6                                  // 00000000B228: 680C0C2E
	s_mul_i32 s60, 12, s46                                     // 00000000B22C: 923C2E8C
	v_add_u32_e32 v6, s60, v6                                  // 00000000B230: 680C0C3C
	s_cmp_ge_i32 3, s73                                        // 00000000B234: BF034983
	s_cbranch_scc1 label_1D0F                                  // 00000000B238: BF850000

000000000000b23c <label_1D0F>:
	s_waitcnt vmcnt(0) expcnt(0) lgkmcnt(0)                    // 00000000B23C: BF8C0000
	s_endpgm                                                   // 00000000B240: BF810000
